;; amdgpu-corpus repo=ROCm/rocFFT kind=compiled arch=gfx950 opt=O3
	.text
	.amdgcn_target "amdgcn-amd-amdhsa--gfx950"
	.amdhsa_code_object_version 6
	.protected	fft_rtc_back_len1890_factors_2_3_3_3_7_5_wgs_126_tpt_126_halfLds_sp_ip_CI_unitstride_sbrr_C2R_dirReg ; -- Begin function fft_rtc_back_len1890_factors_2_3_3_3_7_5_wgs_126_tpt_126_halfLds_sp_ip_CI_unitstride_sbrr_C2R_dirReg
	.globl	fft_rtc_back_len1890_factors_2_3_3_3_7_5_wgs_126_tpt_126_halfLds_sp_ip_CI_unitstride_sbrr_C2R_dirReg
	.p2align	8
	.type	fft_rtc_back_len1890_factors_2_3_3_3_7_5_wgs_126_tpt_126_halfLds_sp_ip_CI_unitstride_sbrr_C2R_dirReg,@function
fft_rtc_back_len1890_factors_2_3_3_3_7_5_wgs_126_tpt_126_halfLds_sp_ip_CI_unitstride_sbrr_C2R_dirReg: ; @fft_rtc_back_len1890_factors_2_3_3_3_7_5_wgs_126_tpt_126_halfLds_sp_ip_CI_unitstride_sbrr_C2R_dirReg
; %bb.0:
	s_load_dwordx2 s[8:9], s[0:1], 0x50
	s_load_dwordx4 s[4:7], s[0:1], 0x0
	s_load_dwordx2 s[10:11], s[0:1], 0x18
	v_mul_u32_u24_e32 v1, 0x209, v0
	v_add_u32_sdwa v6, s2, v1 dst_sel:DWORD dst_unused:UNUSED_PAD src0_sel:DWORD src1_sel:WORD_1
	v_mov_b32_e32 v4, 0
	s_waitcnt lgkmcnt(0)
	v_cmp_lt_u64_e64 s[2:3], s[6:7], 2
	v_mov_b32_e32 v7, v4
	s_and_b64 vcc, exec, s[2:3]
	v_mov_b64_e32 v[2:3], 0
	s_cbranch_vccnz .LBB0_8
; %bb.1:
	s_load_dwordx2 s[2:3], s[0:1], 0x10
	s_add_u32 s12, s10, 8
	s_addc_u32 s13, s11, 0
	s_mov_b64 s[14:15], 1
	v_mov_b64_e32 v[2:3], 0
	s_waitcnt lgkmcnt(0)
	s_add_u32 s16, s2, 8
	s_addc_u32 s17, s3, 0
.LBB0_2:                                ; =>This Inner Loop Header: Depth=1
	s_load_dwordx2 s[18:19], s[16:17], 0x0
                                        ; implicit-def: $vgpr8_vgpr9
	s_waitcnt lgkmcnt(0)
	v_or_b32_e32 v5, s19, v7
	v_cmp_ne_u64_e32 vcc, 0, v[4:5]
	s_and_saveexec_b64 s[2:3], vcc
	s_xor_b64 s[20:21], exec, s[2:3]
	s_cbranch_execz .LBB0_4
; %bb.3:                                ;   in Loop: Header=BB0_2 Depth=1
	v_cvt_f32_u32_e32 v1, s18
	v_cvt_f32_u32_e32 v5, s19
	s_sub_u32 s2, 0, s18
	s_subb_u32 s3, 0, s19
	v_fmac_f32_e32 v1, 0x4f800000, v5
	v_rcp_f32_e32 v1, v1
	s_nop 0
	v_mul_f32_e32 v1, 0x5f7ffffc, v1
	v_mul_f32_e32 v5, 0x2f800000, v1
	v_trunc_f32_e32 v5, v5
	v_fmac_f32_e32 v1, 0xcf800000, v5
	v_cvt_u32_f32_e32 v5, v5
	v_cvt_u32_f32_e32 v1, v1
	v_mul_lo_u32 v8, s2, v5
	v_mul_hi_u32 v10, s2, v1
	v_mul_lo_u32 v9, s3, v1
	v_add_u32_e32 v10, v10, v8
	v_mul_lo_u32 v12, s2, v1
	v_add_u32_e32 v13, v10, v9
	v_mul_hi_u32 v8, v1, v12
	v_mul_hi_u32 v11, v1, v13
	v_mul_lo_u32 v10, v1, v13
	v_mov_b32_e32 v9, v4
	v_lshl_add_u64 v[8:9], v[8:9], 0, v[10:11]
	v_mul_hi_u32 v11, v5, v12
	v_mul_lo_u32 v12, v5, v12
	v_add_co_u32_e32 v8, vcc, v8, v12
	v_mul_hi_u32 v10, v5, v13
	s_nop 0
	v_addc_co_u32_e32 v8, vcc, v9, v11, vcc
	v_mov_b32_e32 v9, v4
	s_nop 0
	v_addc_co_u32_e32 v11, vcc, 0, v10, vcc
	v_mul_lo_u32 v10, v5, v13
	v_lshl_add_u64 v[8:9], v[8:9], 0, v[10:11]
	v_add_co_u32_e32 v1, vcc, v1, v8
	v_mul_lo_u32 v10, s2, v1
	s_nop 0
	v_addc_co_u32_e32 v5, vcc, v5, v9, vcc
	v_mul_lo_u32 v8, s2, v5
	v_mul_hi_u32 v9, s2, v1
	v_add_u32_e32 v8, v9, v8
	v_mul_lo_u32 v9, s3, v1
	v_add_u32_e32 v12, v8, v9
	v_mul_hi_u32 v14, v5, v10
	v_mul_lo_u32 v15, v5, v10
	v_mul_hi_u32 v9, v1, v12
	v_mul_lo_u32 v8, v1, v12
	v_mul_hi_u32 v10, v1, v10
	v_mov_b32_e32 v11, v4
	v_lshl_add_u64 v[8:9], v[10:11], 0, v[8:9]
	v_add_co_u32_e32 v8, vcc, v8, v15
	v_mul_hi_u32 v13, v5, v12
	s_nop 0
	v_addc_co_u32_e32 v8, vcc, v9, v14, vcc
	v_mul_lo_u32 v10, v5, v12
	s_nop 0
	v_addc_co_u32_e32 v11, vcc, 0, v13, vcc
	v_mov_b32_e32 v9, v4
	v_lshl_add_u64 v[8:9], v[8:9], 0, v[10:11]
	v_add_co_u32_e32 v1, vcc, v1, v8
	v_mul_hi_u32 v10, v6, v1
	s_nop 0
	v_addc_co_u32_e32 v5, vcc, v5, v9, vcc
	v_mad_u64_u32 v[8:9], s[2:3], v6, v5, 0
	v_mov_b32_e32 v11, v4
	v_lshl_add_u64 v[8:9], v[10:11], 0, v[8:9]
	v_mad_u64_u32 v[12:13], s[2:3], v7, v1, 0
	v_add_co_u32_e32 v1, vcc, v8, v12
	v_mad_u64_u32 v[10:11], s[2:3], v7, v5, 0
	s_nop 0
	v_addc_co_u32_e32 v8, vcc, v9, v13, vcc
	v_mov_b32_e32 v9, v4
	s_nop 0
	v_addc_co_u32_e32 v11, vcc, 0, v11, vcc
	v_lshl_add_u64 v[8:9], v[8:9], 0, v[10:11]
	v_mul_lo_u32 v1, s19, v8
	v_mul_lo_u32 v5, s18, v9
	v_mad_u64_u32 v[10:11], s[2:3], s18, v8, 0
	v_add3_u32 v1, v11, v5, v1
	v_sub_u32_e32 v5, v7, v1
	v_mov_b32_e32 v11, s19
	v_sub_co_u32_e32 v14, vcc, v6, v10
	v_lshl_add_u64 v[12:13], v[8:9], 0, 1
	s_nop 0
	v_subb_co_u32_e64 v5, s[2:3], v5, v11, vcc
	v_subrev_co_u32_e64 v10, s[2:3], s18, v14
	v_subb_co_u32_e32 v1, vcc, v7, v1, vcc
	s_nop 0
	v_subbrev_co_u32_e64 v5, s[2:3], 0, v5, s[2:3]
	v_cmp_le_u32_e64 s[2:3], s19, v5
	v_cmp_le_u32_e32 vcc, s19, v1
	s_nop 0
	v_cndmask_b32_e64 v11, 0, -1, s[2:3]
	v_cmp_le_u32_e64 s[2:3], s18, v10
	s_nop 1
	v_cndmask_b32_e64 v10, 0, -1, s[2:3]
	v_cmp_eq_u32_e64 s[2:3], s19, v5
	s_nop 1
	v_cndmask_b32_e64 v5, v11, v10, s[2:3]
	v_lshl_add_u64 v[10:11], v[8:9], 0, 2
	v_cmp_ne_u32_e64 s[2:3], 0, v5
	s_nop 1
	v_cndmask_b32_e64 v5, v13, v11, s[2:3]
	v_cndmask_b32_e64 v11, 0, -1, vcc
	v_cmp_le_u32_e32 vcc, s18, v14
	s_nop 1
	v_cndmask_b32_e64 v13, 0, -1, vcc
	v_cmp_eq_u32_e32 vcc, s19, v1
	s_nop 1
	v_cndmask_b32_e32 v1, v11, v13, vcc
	v_cmp_ne_u32_e32 vcc, 0, v1
	v_cndmask_b32_e64 v1, v12, v10, s[2:3]
	s_nop 0
	v_cndmask_b32_e32 v9, v9, v5, vcc
	v_cndmask_b32_e32 v8, v8, v1, vcc
.LBB0_4:                                ;   in Loop: Header=BB0_2 Depth=1
	s_andn2_saveexec_b64 s[2:3], s[20:21]
	s_cbranch_execz .LBB0_6
; %bb.5:                                ;   in Loop: Header=BB0_2 Depth=1
	v_cvt_f32_u32_e32 v1, s18
	s_sub_i32 s20, 0, s18
	v_rcp_iflag_f32_e32 v1, v1
	s_nop 0
	v_mul_f32_e32 v1, 0x4f7ffffe, v1
	v_cvt_u32_f32_e32 v1, v1
	v_mul_lo_u32 v5, s20, v1
	v_mul_hi_u32 v5, v1, v5
	v_add_u32_e32 v1, v1, v5
	v_mul_hi_u32 v1, v6, v1
	v_mul_lo_u32 v5, v1, s18
	v_sub_u32_e32 v5, v6, v5
	v_add_u32_e32 v8, 1, v1
	v_subrev_u32_e32 v9, s18, v5
	v_cmp_le_u32_e32 vcc, s18, v5
	s_nop 1
	v_cndmask_b32_e32 v5, v5, v9, vcc
	v_cndmask_b32_e32 v1, v1, v8, vcc
	v_add_u32_e32 v8, 1, v1
	v_cmp_le_u32_e32 vcc, s18, v5
	v_mov_b32_e32 v9, v4
	s_nop 0
	v_cndmask_b32_e32 v8, v1, v8, vcc
.LBB0_6:                                ;   in Loop: Header=BB0_2 Depth=1
	s_or_b64 exec, exec, s[2:3]
	v_mad_u64_u32 v[10:11], s[2:3], v8, s18, 0
	s_load_dwordx2 s[2:3], s[12:13], 0x0
	v_mul_lo_u32 v1, v9, s18
	v_mul_lo_u32 v5, v8, s19
	v_add3_u32 v1, v11, v5, v1
	v_sub_co_u32_e32 v5, vcc, v6, v10
	s_add_u32 s14, s14, 1
	s_nop 0
	v_subb_co_u32_e32 v1, vcc, v7, v1, vcc
	s_addc_u32 s15, s15, 0
	s_waitcnt lgkmcnt(0)
	v_mul_lo_u32 v1, s2, v1
	v_mul_lo_u32 v6, s3, v5
	v_mad_u64_u32 v[2:3], s[2:3], s2, v5, v[2:3]
	s_add_u32 s12, s12, 8
	v_add3_u32 v3, v6, v3, v1
	s_addc_u32 s13, s13, 0
	v_mov_b64_e32 v[6:7], s[6:7]
	s_add_u32 s16, s16, 8
	v_cmp_ge_u64_e32 vcc, s[14:15], v[6:7]
	s_addc_u32 s17, s17, 0
	s_cbranch_vccnz .LBB0_9
; %bb.7:                                ;   in Loop: Header=BB0_2 Depth=1
	v_mov_b64_e32 v[6:7], v[8:9]
	s_branch .LBB0_2
.LBB0_8:
	v_mov_b64_e32 v[8:9], v[6:7]
.LBB0_9:
	s_lshl_b64 s[2:3], s[6:7], 3
	s_add_u32 s2, s10, s2
	s_addc_u32 s3, s11, s3
	s_load_dwordx2 s[6:7], s[2:3], 0x0
	s_load_dwordx2 s[10:11], s[0:1], 0x20
	s_mov_b32 s2, 0x2082083
	s_waitcnt lgkmcnt(0)
	v_mul_lo_u32 v1, s6, v9
	v_mul_lo_u32 v4, s7, v8
	v_mad_u64_u32 v[2:3], s[0:1], s6, v8, v[2:3]
	v_add3_u32 v3, v4, v3, v1
	v_mul_hi_u32 v1, v0, s2
	v_mul_u32_u24_e32 v1, 0x7e, v1
	v_cmp_gt_u64_e64 s[0:1], s[10:11], v[8:9]
	v_sub_u32_e32 v30, v0, v1
	v_lshl_add_u64 v[28:29], v[2:3], 3, s[8:9]
	s_and_saveexec_b64 s[2:3], s[0:1]
	s_cbranch_execz .LBB0_13
; %bb.10:
	v_mov_b32_e32 v31, 0
	v_lshl_add_u64 v[0:1], v[30:31], 3, v[28:29]
	v_add_co_u32_e32 v10, vcc, 0x1000, v0
	global_load_dwordx2 v[2:3], v[0:1], off
	global_load_dwordx2 v[4:5], v[0:1], off offset:1008
	global_load_dwordx2 v[6:7], v[0:1], off offset:2016
	;; [unrolled: 1-line block ×3, first 2 shown]
	v_addc_co_u32_e32 v11, vcc, 0, v1, vcc
	v_add_co_u32_e32 v20, vcc, 0x2000, v0
	global_load_dwordx2 v[12:13], v[0:1], off offset:4032
	global_load_dwordx2 v[14:15], v[10:11], off offset:944
	;; [unrolled: 1-line block ×4, first 2 shown]
	v_addc_co_u32_e32 v21, vcc, 0, v1, vcc
	v_add_co_u32_e32 v0, vcc, 0x3000, v0
	global_load_dwordx2 v[22:23], v[10:11], off offset:3968
	global_load_dwordx2 v[24:25], v[20:21], off offset:880
	;; [unrolled: 1-line block ×4, first 2 shown]
	v_addc_co_u32_e32 v1, vcc, 0, v1, vcc
	global_load_dwordx2 v[10:11], v[20:21], off offset:3904
	global_load_dwordx2 v[34:35], v[0:1], off offset:816
	;; [unrolled: 1-line block ×3, first 2 shown]
	s_movk_i32 s6, 0x7d
	v_lshl_add_u32 v0, v30, 3, 0
	v_cmp_eq_u32_e32 vcc, s6, v30
	v_add_u32_e32 v1, 0x400, v0
	v_add_u32_e32 v20, 0xc00, v0
	;; [unrolled: 1-line block ×6, first 2 shown]
	s_waitcnt vmcnt(13)
	ds_write2_b64 v0, v[2:3], v[4:5] offset1:126
	s_waitcnt vmcnt(11)
	ds_write2_b64 v1, v[6:7], v[8:9] offset0:124 offset1:250
	s_waitcnt vmcnt(9)
	ds_write2_b64 v20, v[12:13], v[14:15] offset0:120 offset1:246
	;; [unrolled: 2-line block ×6, first 2 shown]
	s_waitcnt vmcnt(0)
	ds_write_b64 v0, v[36:37] offset:14112
	s_and_saveexec_b64 s[6:7], vcc
	s_cbranch_execz .LBB0_12
; %bb.11:
	v_add_co_u32_e32 v0, vcc, 0x3000, v28
	v_mov_b32_e32 v30, 0x7d
	s_nop 0
	v_addc_co_u32_e32 v1, vcc, 0, v29, vcc
	global_load_dwordx2 v[0:1], v[0:1], off offset:2832
	s_waitcnt vmcnt(0)
	ds_write_b64 v31, v[0:1] offset:15120
.LBB0_12:
	s_or_b64 exec, exec, s[6:7]
.LBB0_13:
	s_or_b64 exec, exec, s[2:3]
	v_lshlrev_b32_e32 v8, 3, v30
	v_add_u32_e32 v48, 0, v8
	s_waitcnt lgkmcnt(0)
	s_barrier
	v_sub_u32_e32 v9, 0, v8
	ds_read_b32 v0, v48
	ds_read_b32 v1, v9 offset:15120
	s_add_u32 s2, s4, 0x3b00
	s_addc_u32 s3, s5, 0
	v_cmp_ne_u32_e32 vcc, 0, v30
	s_waitcnt lgkmcnt(0)
	v_add_f32_e32 v2, v1, v0
	v_sub_f32_e32 v3, v0, v1
                                        ; implicit-def: $vgpr0_vgpr1
	s_and_saveexec_b64 s[6:7], vcc
	s_xor_b64 s[6:7], exec, s[6:7]
	s_cbranch_execz .LBB0_15
; %bb.14:
	v_mov_b32_e32 v31, 0
	v_lshl_add_u64 v[0:1], v[30:31], 3, s[2:3]
	global_load_dwordx2 v[4:5], v[0:1], off
	ds_read_b32 v11, v9 offset:15124
	ds_read_b32 v12, v48 offset:4
	v_mov_b32_e32 v6, v3
	v_mov_b32_e32 v10, v2
	v_mov_b32_e32 v13, v3
	v_mov_b64_e32 v[0:1], v[30:31]
	s_waitcnt lgkmcnt(0)
	v_add_f32_e32 v7, v11, v12
	v_sub_f32_e32 v11, v12, v11
	v_mov_b32_e32 v12, v7
	s_waitcnt vmcnt(0)
	v_pk_mul_f32 v[14:15], v[6:7], v[4:5] op_sel:[0,1]
	v_pk_fma_f32 v[6:7], v[6:7], v[4:5], v[10:11] op_sel:[0,1,0]
	v_mov_b32_e32 v3, v15
	v_mov_b32_e32 v15, v11
	v_pk_fma_f32 v[16:17], v[4:5], v[12:13], v[6:7] neg_lo:[1,0,0] neg_hi:[1,0,0]
	v_pk_fma_f32 v[6:7], v[4:5], v[12:13], v[6:7] op_sel_hi:[0,1,1]
	v_pk_add_f32 v[2:3], v[2:3], v[14:15] neg_lo:[0,1] neg_hi:[0,1]
	v_mov_b32_e32 v17, v7
	v_pk_fma_f32 v[2:3], v[4:5], v[12:13], v[2:3] op_sel_hi:[0,1,1]
	ds_write_b64 v9, v[2:3] offset:15120
	v_mov_b64_e32 v[2:3], v[16:17]
.LBB0_15:
	s_andn2_saveexec_b64 s[6:7], s[6:7]
	s_cbranch_execz .LBB0_17
; %bb.16:
	v_mov_b32_e32 v4, 0
	ds_read_b64 v[0:1], v4 offset:7560
	s_mov_b32 s8, 2.0
	s_mov_b32 s9, -2.0
	s_waitcnt lgkmcnt(0)
	v_pk_mul_f32 v[0:1], v[0:1], s[8:9]
	ds_write_b64 v4, v[0:1] offset:7560
	v_mov_b64_e32 v[0:1], 0
.LBB0_17:
	s_or_b64 exec, exec, s[6:7]
	v_lshl_add_u64 v[0:1], v[0:1], 3, s[2:3]
	global_load_dwordx2 v[10:11], v[0:1], off offset:1008
	global_load_dwordx2 v[12:13], v[0:1], off offset:2016
	v_add_u32_e32 v4, 0x17a, v30
	v_mov_b32_e32 v5, 0
	v_lshl_add_u64 v[6:7], v[4:5], 3, s[2:3]
	global_load_dwordx2 v[14:15], v[6:7], off
	v_add_u32_e32 v6, 0x1f8, v30
	v_mov_b32_e32 v7, v5
	ds_write_b64 v48, v[2:3]
	v_lshl_add_u64 v[2:3], v[6:7], 3, s[2:3]
	global_load_dwordx2 v[2:3], v[2:3], off
	s_movk_i32 s2, 0x1000
	v_add_co_u32_e32 v20, vcc, s2, v0
	ds_read_b64 v[16:17], v9 offset:14112
	ds_read_b64 v[18:19], v48 offset:1008
	v_addc_co_u32_e32 v21, vcc, 0, v1, vcc
	global_load_dwordx2 v[22:23], v[20:21], off offset:944
	v_lshl_add_u32 v31, v4, 3, 0
	s_waitcnt lgkmcnt(0)
	v_pk_add_f32 v[24:25], v[18:19], v[16:17]
	v_pk_add_f32 v[16:17], v[18:19], v[16:17] neg_lo:[0,1] neg_hi:[0,1]
	v_mov_b32_e32 v18, v25
	v_mov_b32_e32 v19, v16
	;; [unrolled: 1-line block ×3, first 2 shown]
	v_lshl_add_u32 v5, v6, 3, 0
	v_cmp_gt_u32_e64 s[2:3], 63, v30
	s_waitcnt vmcnt(4)
	v_pk_mul_f32 v[26:27], v[18:19], v[10:11] op_sel:[0,1]
	s_nop 0
	v_pk_add_f32 v[32:33], v[24:25], v[26:27] op_sel:[0,1] op_sel_hi:[1,0]
	v_mov_b32_e32 v25, v26
	v_mov_b32_e32 v16, v27
	v_pk_fma_f32 v[26:27], v[10:11], v[18:19], v[32:33] neg_lo:[1,0,0] neg_hi:[1,0,0]
	v_pk_fma_f32 v[32:33], v[10:11], v[18:19], v[32:33] op_sel_hi:[0,1,1]
	v_pk_add_f32 v[16:17], v[24:25], v[16:17] neg_lo:[0,1] neg_hi:[0,1]
	v_mov_b32_e32 v27, v33
	v_pk_fma_f32 v[10:11], v[10:11], v[18:19], v[16:17] op_sel_hi:[0,1,1]
	ds_write_b64 v48, v[26:27] offset:1008
	ds_write_b64 v9, v[10:11] offset:14112
	ds_read_b64 v[10:11], v9 offset:13104
	ds_read_b64 v[16:17], v48 offset:2016
	global_load_dwordx2 v[18:19], v[20:21], off offset:1952
	s_waitcnt lgkmcnt(0)
	v_pk_add_f32 v[20:21], v[16:17], v[10:11]
	v_pk_add_f32 v[10:11], v[16:17], v[10:11] neg_lo:[0,1] neg_hi:[0,1]
	v_mov_b32_e32 v16, v21
	v_mov_b32_e32 v17, v10
	;; [unrolled: 1-line block ×3, first 2 shown]
	s_waitcnt vmcnt(4)
	v_pk_mul_f32 v[24:25], v[16:17], v[12:13] op_sel:[0,1]
	s_nop 0
	v_pk_add_f32 v[26:27], v[20:21], v[24:25] op_sel:[0,1] op_sel_hi:[1,0]
	v_mov_b32_e32 v21, v24
	v_mov_b32_e32 v10, v25
	v_pk_fma_f32 v[24:25], v[12:13], v[16:17], v[26:27] neg_lo:[1,0,0] neg_hi:[1,0,0]
	v_pk_fma_f32 v[26:27], v[12:13], v[16:17], v[26:27] op_sel_hi:[0,1,1]
	v_pk_add_f32 v[10:11], v[20:21], v[10:11] neg_lo:[0,1] neg_hi:[0,1]
	v_mov_b32_e32 v25, v27
	v_pk_fma_f32 v[10:11], v[12:13], v[16:17], v[10:11] op_sel_hi:[0,1,1]
	ds_write_b64 v48, v[24:25] offset:2016
	ds_write_b64 v9, v[10:11] offset:13104
	ds_read_b64 v[10:11], v9 offset:12096
	ds_read_b64 v[12:13], v31
	s_waitcnt lgkmcnt(0)
	v_pk_add_f32 v[16:17], v[12:13], v[10:11]
	v_pk_add_f32 v[10:11], v[12:13], v[10:11] neg_lo:[0,1] neg_hi:[0,1]
	v_mov_b32_e32 v12, v17
	v_mov_b32_e32 v13, v10
	;; [unrolled: 1-line block ×3, first 2 shown]
	s_waitcnt vmcnt(3)
	v_pk_mul_f32 v[20:21], v[12:13], v[14:15] op_sel:[0,1]
	s_nop 0
	v_pk_add_f32 v[24:25], v[16:17], v[20:21] op_sel:[0,1] op_sel_hi:[1,0]
	v_mov_b32_e32 v17, v20
	v_mov_b32_e32 v10, v21
	v_pk_fma_f32 v[20:21], v[14:15], v[12:13], v[24:25] neg_lo:[1,0,0] neg_hi:[1,0,0]
	v_pk_fma_f32 v[24:25], v[14:15], v[12:13], v[24:25] op_sel_hi:[0,1,1]
	v_pk_add_f32 v[10:11], v[16:17], v[10:11] neg_lo:[0,1] neg_hi:[0,1]
	v_mov_b32_e32 v21, v25
	v_pk_fma_f32 v[10:11], v[14:15], v[12:13], v[10:11] op_sel_hi:[0,1,1]
	ds_write_b64 v31, v[20:21]
	ds_write_b64 v9, v[10:11] offset:12096
	ds_read_b64 v[10:11], v9 offset:11088
	ds_read_b64 v[12:13], v5
	s_waitcnt lgkmcnt(0)
	v_pk_add_f32 v[14:15], v[12:13], v[10:11]
	v_pk_add_f32 v[10:11], v[12:13], v[10:11] neg_lo:[0,1] neg_hi:[0,1]
	v_mov_b32_e32 v12, v15
	v_mov_b32_e32 v13, v10
	;; [unrolled: 1-line block ×3, first 2 shown]
	s_waitcnt vmcnt(2)
	v_pk_mul_f32 v[16:17], v[12:13], v[2:3] op_sel:[0,1]
	s_nop 0
	v_pk_add_f32 v[20:21], v[14:15], v[16:17] op_sel:[0,1] op_sel_hi:[1,0]
	v_mov_b32_e32 v15, v16
	v_mov_b32_e32 v10, v17
	v_pk_fma_f32 v[16:17], v[2:3], v[12:13], v[20:21] neg_lo:[1,0,0] neg_hi:[1,0,0]
	v_pk_fma_f32 v[20:21], v[2:3], v[12:13], v[20:21] op_sel_hi:[0,1,1]
	v_pk_add_f32 v[10:11], v[14:15], v[10:11] neg_lo:[0,1] neg_hi:[0,1]
	v_mov_b32_e32 v17, v21
	v_pk_fma_f32 v[2:3], v[2:3], v[12:13], v[10:11] op_sel_hi:[0,1,1]
	ds_write_b64 v5, v[16:17]
	ds_write_b64 v9, v[2:3] offset:11088
	ds_read_b64 v[2:3], v9 offset:10080
	ds_read_b64 v[10:11], v48 offset:5040
	s_waitcnt lgkmcnt(0)
	v_pk_add_f32 v[12:13], v[10:11], v[2:3]
	v_pk_add_f32 v[2:3], v[10:11], v[2:3] neg_lo:[0,1] neg_hi:[0,1]
	v_mov_b32_e32 v10, v13
	v_mov_b32_e32 v11, v2
	;; [unrolled: 1-line block ×3, first 2 shown]
	s_waitcnt vmcnt(1)
	v_pk_mul_f32 v[14:15], v[10:11], v[22:23] op_sel:[0,1]
	s_nop 0
	v_pk_add_f32 v[16:17], v[12:13], v[14:15] op_sel:[0,1] op_sel_hi:[1,0]
	v_mov_b32_e32 v13, v14
	v_mov_b32_e32 v2, v15
	v_pk_fma_f32 v[14:15], v[22:23], v[10:11], v[16:17] neg_lo:[1,0,0] neg_hi:[1,0,0]
	v_pk_fma_f32 v[16:17], v[22:23], v[10:11], v[16:17] op_sel_hi:[0,1,1]
	v_pk_add_f32 v[2:3], v[12:13], v[2:3] neg_lo:[0,1] neg_hi:[0,1]
	v_mov_b32_e32 v15, v17
	v_pk_fma_f32 v[2:3], v[22:23], v[10:11], v[2:3] op_sel_hi:[0,1,1]
	ds_write_b64 v48, v[14:15] offset:5040
	ds_write_b64 v9, v[2:3] offset:10080
	ds_read_b64 v[2:3], v9 offset:9072
	ds_read_b64 v[10:11], v48 offset:6048
	s_waitcnt lgkmcnt(0)
	v_pk_add_f32 v[12:13], v[10:11], v[2:3]
	v_pk_add_f32 v[2:3], v[10:11], v[2:3] neg_lo:[0,1] neg_hi:[0,1]
	v_mov_b32_e32 v10, v13
	v_mov_b32_e32 v11, v2
	;; [unrolled: 1-line block ×3, first 2 shown]
	s_waitcnt vmcnt(0)
	v_pk_mul_f32 v[14:15], v[10:11], v[18:19] op_sel:[0,1]
	s_nop 0
	v_pk_add_f32 v[16:17], v[12:13], v[14:15] op_sel:[0,1] op_sel_hi:[1,0]
	v_mov_b32_e32 v13, v14
	v_mov_b32_e32 v2, v15
	v_pk_fma_f32 v[14:15], v[18:19], v[10:11], v[16:17] neg_lo:[1,0,0] neg_hi:[1,0,0]
	v_pk_fma_f32 v[16:17], v[18:19], v[10:11], v[16:17] op_sel_hi:[0,1,1]
	v_pk_add_f32 v[2:3], v[12:13], v[2:3] neg_lo:[0,1] neg_hi:[0,1]
	v_mov_b32_e32 v15, v17
	v_pk_fma_f32 v[2:3], v[18:19], v[10:11], v[2:3] op_sel_hi:[0,1,1]
	ds_write_b64 v48, v[14:15] offset:6048
	ds_write_b64 v9, v[2:3] offset:9072
	s_and_saveexec_b64 s[6:7], s[2:3]
	s_cbranch_execz .LBB0_19
; %bb.18:
	v_add_co_u32_e32 v0, vcc, 0x1000, v0
	s_nop 1
	v_addc_co_u32_e32 v1, vcc, 0, v1, vcc
	global_load_dwordx2 v[0:1], v[0:1], off offset:2960
	ds_read_b64 v[2:3], v9 offset:8064
	ds_read_b64 v[10:11], v48 offset:7056
	s_waitcnt lgkmcnt(0)
	v_pk_add_f32 v[12:13], v[10:11], v[2:3]
	v_pk_add_f32 v[2:3], v[10:11], v[2:3] neg_lo:[0,1] neg_hi:[0,1]
	v_mov_b32_e32 v10, v13
	v_mov_b32_e32 v11, v2
	;; [unrolled: 1-line block ×3, first 2 shown]
	s_waitcnt vmcnt(0)
	v_pk_mul_f32 v[14:15], v[10:11], v[0:1] op_sel:[0,1]
	s_nop 0
	v_pk_add_f32 v[16:17], v[12:13], v[14:15] op_sel:[0,1] op_sel_hi:[1,0]
	v_mov_b32_e32 v13, v14
	v_mov_b32_e32 v2, v15
	v_pk_fma_f32 v[14:15], v[0:1], v[10:11], v[16:17] neg_lo:[1,0,0] neg_hi:[1,0,0]
	v_pk_fma_f32 v[16:17], v[0:1], v[10:11], v[16:17] op_sel_hi:[0,1,1]
	v_pk_add_f32 v[2:3], v[12:13], v[2:3] neg_lo:[0,1] neg_hi:[0,1]
	v_mov_b32_e32 v15, v17
	v_pk_fma_f32 v[0:1], v[0:1], v[10:11], v[2:3] op_sel_hi:[0,1,1]
	ds_write_b64 v48, v[14:15] offset:7056
	ds_write_b64 v9, v[0:1] offset:8064
.LBB0_19:
	s_or_b64 exec, exec, s[6:7]
	v_add_u32_e32 v0, 0x1400, v48
	v_add_u32_e32 v7, 0x3400, v48
	s_waitcnt lgkmcnt(0)
	s_barrier
	s_barrier
	ds_read2_b64 v[0:3], v0 offset0:116 offset1:242
	ds_read2_b64 v[10:13], v7 offset0:37 offset1:163
	ds_read2_b64 v[14:17], v48 offset1:126
	v_add_u32_e32 v7, 0x1c00, v48
	ds_read2_b64 v[18:21], v7 offset0:49 offset1:175
	v_add_u32_e32 v9, 0x400, v48
	ds_read2_b64 v[22:25], v9 offset0:124 offset1:250
	v_add_u32_e32 v9, 0xc00, v48
	s_waitcnt lgkmcnt(3)
	v_pk_add_f32 v[32:33], v[2:3], v[12:13] neg_lo:[0,1] neg_hi:[0,1]
	s_waitcnt lgkmcnt(1)
	v_pk_add_f32 v[26:27], v[14:15], v[18:19] neg_lo:[0,1] neg_hi:[0,1]
	v_pk_add_f32 v[40:41], v[16:17], v[20:21] neg_lo:[0,1] neg_hi:[0,1]
	v_pk_fma_f32 v[38:39], v[14:15], 2.0, v[26:27] op_sel_hi:[1,0,1] neg_lo:[0,0,1] neg_hi:[0,0,1]
	v_add_u32_e32 v12, 0x2400, v48
	v_pk_fma_f32 v[42:43], v[16:17], 2.0, v[40:41] op_sel_hi:[1,0,1] neg_lo:[0,0,1] neg_hi:[0,0,1]
	ds_read2_b64 v[14:17], v9 offset0:120 offset1:246
	v_add_u32_e32 v9, 0x2c00, v48
	ds_read2_b64 v[34:37], v12 offset0:45 offset1:171
	ds_read2_b64 v[18:21], v9 offset0:41 offset1:167
	v_add_u32_e32 v50, 0x7e, v30
	v_add_u32_e32 v49, 0xfc, v30
	;; [unrolled: 1-line block ×3, first 2 shown]
	s_waitcnt lgkmcnt(1)
	v_pk_add_f32 v[34:35], v[22:23], v[34:35] neg_lo:[0,1] neg_hi:[0,1]
	v_lshl_add_u32 v51, v30, 4, 0
	s_waitcnt lgkmcnt(0)
	v_pk_add_f32 v[20:21], v[16:17], v[20:21] neg_lo:[0,1] neg_hi:[0,1]
	v_pk_add_f32 v[10:11], v[0:1], v[10:11] neg_lo:[0,1] neg_hi:[0,1]
	;; [unrolled: 1-line block ×4, first 2 shown]
	v_lshl_add_u32 v44, v50, 4, 0
	v_lshl_add_u32 v45, v49, 4, 0
	v_pk_fma_f32 v[22:23], v[22:23], 2.0, v[34:35] op_sel_hi:[1,0,1] neg_lo:[0,0,1] neg_hi:[0,0,1]
	v_lshl_add_u32 v46, v4, 4, 0
	v_lshl_add_u32 v47, v6, 4, 0
	v_add_u32_e32 v52, 0x2760, v51
	v_pk_fma_f32 v[16:17], v[16:17], 2.0, v[20:21] op_sel_hi:[1,0,1] neg_lo:[0,0,1] neg_hi:[0,0,1]
	v_add_u32_e32 v51, 0x2f40, v51
	v_pk_fma_f32 v[0:1], v[0:1], 2.0, v[10:11] op_sel_hi:[1,0,1] neg_lo:[0,0,1] neg_hi:[0,0,1]
	v_pk_fma_f32 v[14:15], v[14:15], 2.0, v[18:19] op_sel_hi:[1,0,1] neg_lo:[0,0,1] neg_hi:[0,0,1]
	v_pk_fma_f32 v[24:25], v[24:25], 2.0, v[36:37] op_sel_hi:[1,0,1] neg_lo:[0,0,1] neg_hi:[0,0,1]
	s_barrier
	ds_write2_b64 v13, v[38:39], v[26:27] offset1:1
	ds_write2_b64 v44, v[42:43], v[40:41] offset1:1
	;; [unrolled: 1-line block ×7, first 2 shown]
	s_and_saveexec_b64 s[6:7], s[2:3]
	s_cbranch_execz .LBB0_21
; %bb.20:
	s_movk_i32 s2, 0x3720
	v_pk_fma_f32 v[0:1], v[2:3], 2.0, v[32:33] op_sel_hi:[1,0,1] neg_lo:[0,0,1] neg_hi:[0,0,1]
	v_add3_u32 v2, v48, v8, s2
	ds_write2_b64 v2, v[0:1], v[32:33] offset1:1
.LBB0_21:
	s_or_b64 exec, exec, s[6:7]
	v_and_b32_e32 v13, 1, v30
	v_lshlrev_b32_e32 v0, 4, v13
	s_waitcnt lgkmcnt(0)
	s_barrier
	global_load_dwordx4 v[0:3], v0, s[4:5]
	v_add_u32_e32 v10, 0x1800, v48
	v_add_u32_e32 v11, 0x1000, v48
	;; [unrolled: 1-line block ×4, first 2 shown]
	ds_read2_b32 v[26:27], v9 offset0:208 offset1:209
	ds_read_b64 v[34:35], v31
	ds_read_b64 v[46:47], v5
	ds_read_b64 v[52:53], v48 offset:11088
	ds_read_b64 v[54:55], v48 offset:2016
	ds_read2_b64 v[14:17], v48 offset1:126
	ds_read2_b64 v[18:21], v10 offset0:114 offset1:240
	ds_read2_b64 v[22:25], v8 offset0:110 offset1:236
	;; [unrolled: 1-line block ×4, first 2 shown]
	s_waitcnt lgkmcnt(9)
	v_mov_b32_e32 v56, v27
	v_lshrrev_b32_e32 v37, 1, v30
	s_mov_b32 s2, 0x3f5db3d7
	s_waitcnt lgkmcnt(0)
	s_barrier
	s_movk_i32 s6, 0x90
	v_cmp_gt_u32_e32 vcc, 18, v30
	s_waitcnt vmcnt(0)
	v_pk_mul_f32 v[58:59], v[0:1], v[18:19] op_sel:[0,1]
	v_pk_mul_f32 v[60:61], v[22:23], v[0:1] op_sel:[0,1]
	v_mov_b32_e32 v62, v3
	v_pk_mul_f32 v[64:65], v[20:21], v[0:1] op_sel:[0,1]
	v_pk_mul_f32 v[66:67], v[0:1], v[40:41] op_sel:[0,1]
	;; [unrolled: 1-line block ×4, first 2 shown]
	v_pk_fma_f32 v[72:73], v[0:1], v[18:19], v[58:59] op_sel:[0,0,1] op_sel_hi:[1,1,0]
	v_pk_fma_f32 v[18:19], v[0:1], v[18:19], v[58:59] op_sel:[0,0,1] op_sel_hi:[1,0,0] neg_lo:[1,0,0] neg_hi:[1,0,0]
	v_pk_fma_f32 v[58:59], v[22:23], v[0:1], v[60:61] op_sel:[0,0,1] op_sel_hi:[1,1,0]
	v_pk_fma_f32 v[22:23], v[22:23], v[0:1], v[60:61] op_sel:[0,0,1] op_sel_hi:[1,0,0] neg_lo:[0,0,1] neg_hi:[0,0,1]
	;; [unrolled: 2-line block ×5, first 2 shown]
	v_pk_mul_f32 v[38:39], v[44:45], v[62:63] op_sel_hi:[1,0]
	v_pk_mul_f32 v[62:63], v[42:43], v[62:63] op_sel_hi:[1,0]
	;; [unrolled: 1-line block ×3, first 2 shown]
	v_pk_fma_f32 v[68:69], v[2:3], v[24:25], v[70:71] op_sel:[0,0,1] op_sel_hi:[1,1,0]
	v_pk_fma_f32 v[24:25], v[2:3], v[24:25], v[70:71] op_sel:[0,0,1] op_sel_hi:[1,0,0] neg_lo:[1,0,0] neg_hi:[1,0,0]
	v_pk_fma_f32 v[70:71], v[44:45], v[2:3], v[38:39] op_sel:[0,0,1] op_sel_hi:[1,1,0]
	v_pk_fma_f32 v[38:39], v[44:45], v[2:3], v[38:39] op_sel:[0,0,1] op_sel_hi:[1,0,0] neg_lo:[0,0,1] neg_hi:[0,0,1]
	;; [unrolled: 2-line block ×3, first 2 shown]
	v_pk_mul_f32 v[62:63], v[2:3], v[52:53] op_sel:[0,1]
	v_pk_fma_f32 v[74:75], v[2:3], v[26:27], v[56:57] op_sel:[0,0,1] op_sel_hi:[1,1,0]
	v_pk_fma_f32 v[26:27], v[2:3], v[26:27], v[56:57] op_sel:[0,0,1] op_sel_hi:[1,0,0] neg_lo:[1,0,0] neg_hi:[1,0,0]
	v_pk_fma_f32 v[56:57], v[2:3], v[52:53], v[62:63] op_sel:[0,0,1] op_sel_hi:[1,1,0]
	v_pk_fma_f32 v[2:3], v[2:3], v[52:53], v[62:63] op_sel:[0,0,1] op_sel_hi:[1,0,0] neg_lo:[1,0,0] neg_hi:[1,0,0]
	v_lshrrev_b32_e32 v18, 1, v4
	v_lshrrev_b32_e32 v0, 1, v50
	v_lshrrev_b32_e32 v2, 1, v49
	v_mul_u32_u24_e32 v20, 6, v37
	v_mul_lo_u32 v18, v18, 6
	v_mul_u32_u24_e32 v0, 6, v0
	v_mul_u32_u24_e32 v2, 6, v2
	v_or_b32_e32 v20, v20, v13
	v_or_b32_e32 v18, v18, v13
	v_mov_b32_e32 v67, v1
	v_mov_b32_e32 v69, v25
	v_or_b32_e32 v0, v0, v13
	v_or_b32_e32 v2, v2, v13
	v_lshl_add_u32 v37, v20, 3, 0
	v_lshl_add_u32 v42, v18, 3, 0
	v_mov_b32_e32 v73, v19
	v_mov_b32_e32 v61, v21
	v_pk_add_f32 v[18:19], v[66:67], v[68:69]
	v_pk_add_f32 v[20:21], v[66:67], v[68:69] neg_lo:[0,1] neg_hi:[0,1]
	v_mov_b32_e32 v65, v41
	v_mov_b32_e32 v57, v3
	v_lshl_add_u32 v38, v0, 3, 0
	v_lshl_add_u32 v40, v2, 3, 0
	v_pk_add_f32 v[0:1], v[14:15], v[66:67]
	v_pk_fma_f32 v[14:15], v[18:19], 0.5, v[14:15] op_sel_hi:[1,0,1] neg_lo:[1,0,0] neg_hi:[1,0,0]
	v_pk_mul_f32 v[18:19], v[20:21], s[2:3] op_sel_hi:[1,0]
	v_pk_add_f32 v[2:3], v[64:65], v[56:57]
	v_pk_add_f32 v[24:25], v[64:65], v[56:57] neg_lo:[0,1] neg_hi:[0,1]
	v_pk_add_f32 v[20:21], v[14:15], v[18:19] op_sel:[0,1] op_sel_hi:[1,0] neg_lo:[0,1] neg_hi:[0,1]
	v_pk_add_f32 v[14:15], v[14:15], v[18:19] op_sel:[0,1] op_sel_hi:[1,0]
	v_pk_fma_f32 v[2:3], v[2:3], 0.5, v[16:17] op_sel_hi:[1,0,1] neg_lo:[1,0,0] neg_hi:[1,0,0]
	v_pk_mul_f32 v[24:25], v[24:25], s[2:3] op_sel_hi:[1,0]
	v_mov_b32_e32 v75, v27
	v_pk_add_f32 v[0:1], v[0:1], v[68:69]
	v_mov_b32_e32 v18, v20
	v_mov_b32_e32 v19, v15
	v_pk_add_f32 v[16:17], v[16:17], v[64:65]
	v_pk_add_f32 v[26:27], v[2:3], v[24:25] op_sel:[0,1] op_sel_hi:[1,0] neg_lo:[0,1] neg_hi:[0,1]
	v_pk_add_f32 v[2:3], v[2:3], v[24:25] op_sel:[0,1] op_sel_hi:[1,0]
	v_mov_b32_e32 v15, v21
	ds_write2_b64 v37, v[0:1], v[18:19] offset1:2
	v_lshrrev_b32_e32 v0, 1, v6
	v_pk_add_f32 v[16:17], v[16:17], v[56:57]
	ds_write_b64 v37, v[14:15] offset:32
	v_mov_b32_e32 v14, v26
	v_mov_b32_e32 v15, v3
	;; [unrolled: 1-line block ×3, first 2 shown]
	v_mul_lo_u32 v0, v0, 6
	ds_write2_b64 v38, v[16:17], v[14:15] offset1:2
	ds_write_b64 v38, v[2:3] offset:32
	v_pk_add_f32 v[2:3], v[72:73], v[74:75]
	v_pk_add_f32 v[14:15], v[72:73], v[74:75] neg_lo:[0,1] neg_hi:[0,1]
	v_or_b32_e32 v0, v0, v13
	v_pk_fma_f32 v[2:3], v[2:3], 0.5, v[54:55] op_sel_hi:[1,0,1] neg_lo:[1,0,0] neg_hi:[1,0,0]
	v_pk_mul_f32 v[14:15], v[14:15], s[2:3] op_sel_hi:[1,0]
	v_lshl_add_u32 v13, v0, 3, 0
	v_pk_add_f32 v[0:1], v[54:55], v[72:73]
	v_pk_add_f32 v[16:17], v[2:3], v[14:15] op_sel:[0,1] op_sel_hi:[1,0] neg_lo:[0,1] neg_hi:[0,1]
	v_pk_add_f32 v[2:3], v[2:3], v[14:15] op_sel:[0,1] op_sel_hi:[1,0]
	v_mov_b32_e32 v45, v43
	v_pk_add_f32 v[0:1], v[0:1], v[74:75]
	v_mov_b32_e32 v14, v16
	v_mov_b32_e32 v15, v3
	;; [unrolled: 1-line block ×3, first 2 shown]
	ds_write2_b64 v40, v[0:1], v[14:15] offset1:2
	ds_write_b64 v40, v[2:3] offset:32
	v_pk_add_f32 v[0:1], v[60:61], v[44:45]
	v_pk_add_f32 v[2:3], v[60:61], v[44:45] neg_lo:[0,1] neg_hi:[0,1]
	v_pk_fma_f32 v[0:1], v[0:1], 0.5, v[34:35] op_sel_hi:[1,0,1] neg_lo:[1,0,0] neg_hi:[1,0,0]
	v_pk_mul_f32 v[2:3], v[2:3], s[2:3] op_sel_hi:[1,0]
	v_mov_b32_e32 v59, v23
	v_pk_add_f32 v[22:23], v[34:35], v[60:61]
	v_pk_add_f32 v[14:15], v[0:1], v[2:3] op_sel:[0,1] op_sel_hi:[1,0] neg_lo:[0,1] neg_hi:[0,1]
	v_pk_add_f32 v[0:1], v[0:1], v[2:3] op_sel:[0,1] op_sel_hi:[1,0]
	v_mov_b32_e32 v71, v39
	v_pk_add_f32 v[22:23], v[22:23], v[44:45]
	v_mov_b32_e32 v2, v14
	v_mov_b32_e32 v3, v1
	v_mov_b32_e32 v1, v15
	ds_write2_b64 v42, v[22:23], v[2:3] offset1:2
	ds_write_b64 v42, v[0:1] offset:32
	v_pk_add_f32 v[0:1], v[58:59], v[70:71]
	v_pk_add_f32 v[2:3], v[58:59], v[70:71] neg_lo:[0,1] neg_hi:[0,1]
	v_pk_fma_f32 v[0:1], v[0:1], 0.5, v[46:47] op_sel_hi:[1,0,1] neg_lo:[1,0,0] neg_hi:[1,0,0]
	v_pk_mul_f32 v[2:3], v[2:3], s[2:3] op_sel_hi:[1,0]
	s_movk_i32 s3, 0xab
	v_pk_add_f32 v[14:15], v[0:1], v[2:3] op_sel:[0,1] op_sel_hi:[1,0] neg_lo:[0,1] neg_hi:[0,1]
	v_pk_add_f32 v[0:1], v[0:1], v[2:3] op_sel:[0,1] op_sel_hi:[1,0]
	v_pk_add_f32 v[18:19], v[46:47], v[58:59]
	v_mov_b32_e32 v3, v1
	v_mov_b32_e32 v1, v15
	ds_write_b64 v13, v[0:1] offset:32
	v_mul_lo_u16_sdwa v0, v50, s3 dst_sel:DWORD dst_unused:UNUSED_PAD src0_sel:BYTE_0 src1_sel:DWORD
	v_lshrrev_b16_e32 v37, 10, v0
	v_pk_add_f32 v[18:19], v[18:19], v[70:71]
	v_mov_b32_e32 v2, v14
	v_mul_lo_u16_e32 v0, 6, v37
	v_mul_lo_u16_sdwa v14, v30, s3 dst_sel:DWORD dst_unused:UNUSED_PAD src0_sel:BYTE_0 src1_sel:DWORD
	ds_write2_b64 v13, v[18:19], v[2:3] offset1:2
	v_mov_b32_e32 v13, 4
	v_sub_u16_e32 v72, v50, v0
	v_lshrrev_b16_e32 v51, 10, v14
	v_lshlrev_b32_sdwa v0, v13, v72 dst_sel:DWORD dst_unused:UNUSED_PAD src0_sel:DWORD src1_sel:BYTE_0
	v_mul_lo_u16_e32 v14, 6, v51
	s_waitcnt lgkmcnt(0)
	s_barrier
	global_load_dwordx4 v[0:3], v0, s[4:5] offset:32
	v_sub_u16_e32 v73, v30, v14
	v_lshlrev_b32_sdwa v14, v13, v73 dst_sel:DWORD dst_unused:UNUSED_PAD src0_sel:DWORD src1_sel:BYTE_0
	global_load_dwordx4 v[14:17], v14, s[4:5] offset:32
	s_mov_b32 s3, 0xaaab
	v_mul_u32_u24_sdwa v18, v6, s3 dst_sel:DWORD dst_unused:UNUSED_PAD src0_sel:WORD_0 src1_sel:DWORD
	v_lshrrev_b32_e32 v74, 18, v18
	v_mul_lo_u16_e32 v18, 6, v74
	v_sub_u16_e32 v75, v6, v18
	v_mul_u32_u24_sdwa v22, v4, s3 dst_sel:DWORD dst_unused:UNUSED_PAD src0_sel:WORD_0 src1_sel:DWORD
	v_lshlrev_b32_e32 v18, 4, v75
	v_lshrrev_b32_e32 v76, 18, v22
	global_load_dwordx4 v[18:21], v18, s[4:5] offset:32
	v_mul_lo_u16_e32 v22, 6, v76
	v_sub_u16_e32 v77, v4, v22
	v_lshlrev_b32_e32 v22, 4, v77
	global_load_dwordx4 v[22:25], v22, s[4:5] offset:32
	v_mul_u32_u24_sdwa v26, v49, s3 dst_sel:DWORD dst_unused:UNUSED_PAD src0_sel:WORD_0 src1_sel:DWORD
	v_lshrrev_b32_e32 v78, 18, v26
	v_mul_lo_u16_e32 v26, 6, v78
	v_sub_u16_e32 v79, v49, v26
	v_lshlrev_b32_e32 v26, 4, v79
	global_load_dwordx4 v[38:41], v26, s[4:5] offset:32
	ds_read2_b64 v[42:45], v11 offset0:118 offset1:244
	ds_read2_b64 v[52:55], v12 offset0:108 offset1:234
	;; [unrolled: 1-line block ×3, first 2 shown]
	s_waitcnt vmcnt(4) lgkmcnt(2)
	v_pk_mul_f32 v[26:27], v[0:1], v[44:45] op_sel:[0,1]
	s_nop 0
	v_pk_fma_f32 v[34:35], v[0:1], v[44:45], v[26:27] op_sel:[0,0,1] op_sel_hi:[1,1,0]
	v_pk_fma_f32 v[26:27], v[0:1], v[44:45], v[26:27] op_sel:[0,0,1] op_sel_hi:[1,0,0] neg_lo:[1,0,0] neg_hi:[1,0,0]
	s_waitcnt lgkmcnt(1)
	v_pk_mul_f32 v[0:1], v[2:3], v[54:55] op_sel:[0,1]
	v_mov_b32_e32 v35, v27
	v_pk_fma_f32 v[44:45], v[2:3], v[54:55], v[0:1] op_sel:[0,0,1] op_sel_hi:[1,1,0]
	v_pk_fma_f32 v[46:47], v[2:3], v[54:55], v[0:1] op_sel:[0,0,1] op_sel_hi:[1,0,0] neg_lo:[1,0,0] neg_hi:[1,0,0]
	s_waitcnt vmcnt(3)
	v_pk_mul_f32 v[0:1], v[14:15], v[42:43] op_sel:[0,1]
	v_mov_b32_e32 v45, v47
	v_pk_fma_f32 v[54:55], v[14:15], v[42:43], v[0:1] op_sel:[0,0,1] op_sel_hi:[1,1,0]
	v_pk_fma_f32 v[14:15], v[14:15], v[42:43], v[0:1] op_sel:[0,0,1] op_sel_hi:[1,0,0] neg_lo:[1,0,0] neg_hi:[1,0,0]
	v_pk_mul_f32 v[0:1], v[16:17], v[52:53] op_sel:[0,1]
	s_waitcnt vmcnt(2)
	v_mov_b32_e32 v2, v21
	v_pk_fma_f32 v[42:43], v[16:17], v[52:53], v[0:1] op_sel:[0,0,1] op_sel_hi:[1,1,0]
	v_pk_fma_f32 v[16:17], v[16:17], v[52:53], v[0:1] op_sel:[0,0,1] op_sel_hi:[1,0,0] neg_lo:[1,0,0] neg_hi:[1,0,0]
	ds_read_b64 v[0:1], v48 offset:14112
	ds_read_b64 v[52:53], v31
	ds_read_b64 v[60:61], v5
	ds_read_b64 v[62:63], v48 offset:2016
	s_waitcnt vmcnt(1)
	v_mov_b32_e32 v14, v25
	v_mov_b32_e32 v55, v15
	v_mov_b32_e32 v43, v17
	s_waitcnt lgkmcnt(3)
	v_pk_mul_f32 v[2:3], v[0:1], v[2:3] op_sel_hi:[1,0]
	v_pk_add_f32 v[16:17], v[54:55], v[42:43]
	v_pk_fma_f32 v[64:65], v[0:1], v[20:21], v[2:3] op_sel:[0,0,1] op_sel_hi:[1,1,0]
	v_pk_fma_f32 v[20:21], v[0:1], v[20:21], v[2:3] op_sel:[0,0,1] op_sel_hi:[1,0,0] neg_lo:[0,0,1] neg_hi:[0,0,1]
	v_pk_mul_f32 v[0:1], v[58:59], v[18:19] op_sel:[0,1]
	v_mov_b32_e32 v65, v21
	v_pk_fma_f32 v[66:67], v[58:59], v[18:19], v[0:1] op_sel:[0,0,1] op_sel_hi:[1,1,0]
	v_pk_fma_f32 v[18:19], v[58:59], v[18:19], v[0:1] op_sel:[0,0,1] op_sel_hi:[1,0,0] neg_lo:[0,0,1] neg_hi:[0,0,1]
	v_pk_mul_f32 v[0:1], v[56:57], v[22:23] op_sel:[0,1]
	v_mov_b32_e32 v67, v19
	v_pk_fma_f32 v[58:59], v[56:57], v[22:23], v[0:1] op_sel:[0,0,1] op_sel_hi:[1,1,0]
	v_pk_fma_f32 v[22:23], v[56:57], v[22:23], v[0:1] op_sel:[0,0,1] op_sel_hi:[1,0,0] neg_lo:[0,0,1] neg_hi:[0,0,1]
	ds_read2_b64 v[0:3], v9 offset0:104 offset1:230
	v_mov_b32_e32 v59, v23
	s_waitcnt lgkmcnt(0)
	v_pk_mul_f32 v[56:57], v[2:3], v[14:15] op_sel_hi:[1,0]
	s_nop 0
	v_pk_fma_f32 v[68:69], v[2:3], v[24:25], v[56:57] op_sel:[0,0,1] op_sel_hi:[1,1,0]
	v_pk_fma_f32 v[24:25], v[2:3], v[24:25], v[56:57] op_sel:[0,0,1] op_sel_hi:[1,0,0] neg_lo:[0,0,1] neg_hi:[0,0,1]
	s_waitcnt vmcnt(0)
	v_mov_b32_e32 v2, v41
	v_pk_mul_f32 v[2:3], v[0:1], v[2:3] op_sel_hi:[1,0]
	v_mov_b32_e32 v69, v25
	v_pk_fma_f32 v[56:57], v[0:1], v[40:41], v[2:3] op_sel:[0,0,1] op_sel_hi:[1,1,0]
	v_pk_fma_f32 v[40:41], v[0:1], v[40:41], v[2:3] op_sel:[0,0,1] op_sel_hi:[1,0,0] neg_lo:[0,0,1] neg_hi:[0,0,1]
	ds_read2_b32 v[0:1], v10 offset0:228 offset1:229
	v_mov_b32_e32 v57, v41
	s_waitcnt lgkmcnt(0)
	v_mov_b32_e32 v2, v1
	v_pk_mul_f32 v[2:3], v[2:3], v[38:39] op_sel_hi:[0,1]
	v_pk_fma_f32 v[70:71], v[38:39], v[0:1], v[2:3] op_sel:[0,0,1] op_sel_hi:[1,1,0]
	v_pk_fma_f32 v[38:39], v[38:39], v[0:1], v[2:3] op_sel:[0,0,1] op_sel_hi:[1,0,0] neg_lo:[1,0,0] neg_hi:[1,0,0]
	ds_read2_b64 v[0:3], v48 offset1:126
	s_waitcnt lgkmcnt(0)
	s_barrier
	v_mov_b32_e32 v71, v39
	v_pk_add_f32 v[14:15], v[0:1], v[54:55]
	v_pk_fma_f32 v[0:1], v[16:17], 0.5, v[0:1] op_sel_hi:[1,0,1] neg_lo:[1,0,0] neg_hi:[1,0,0]
	v_pk_add_f32 v[14:15], v[14:15], v[42:43]
	v_pk_add_f32 v[42:43], v[54:55], v[42:43] neg_lo:[0,1] neg_hi:[0,1]
	v_pk_add_f32 v[18:19], v[62:63], v[70:71]
	v_pk_mul_f32 v[16:17], v[42:43], s[2:3] op_sel_hi:[1,0]
	s_mov_b32 s3, 0x5040100
	v_pk_add_f32 v[42:43], v[0:1], v[16:17] op_sel:[0,1] op_sel_hi:[1,0] neg_lo:[0,1] neg_hi:[0,1]
	v_pk_add_f32 v[0:1], v[0:1], v[16:17] op_sel:[0,1] op_sel_hi:[1,0]
	v_mul_u32_u24_e32 v16, 0x90, v51
	v_mov_b32_e32 v51, 3
	v_lshlrev_b32_sdwa v17, v51, v73 dst_sel:DWORD dst_unused:UNUSED_PAD src0_sel:DWORD src1_sel:BYTE_0
	v_add3_u32 v20, 0, v16, v17
	v_mov_b32_e32 v16, v42
	v_mov_b32_e32 v17, v1
	ds_write2_b64 v20, v[14:15], v[16:17] offset1:6
	v_mul_u32_u24_e32 v1, 0x90, v37
	v_lshlrev_b32_sdwa v14, v51, v72 dst_sel:DWORD dst_unused:UNUSED_PAD src0_sel:DWORD src1_sel:BYTE_0
	v_add3_u32 v24, 0, v1, v14
	v_mul_u32_u24_e32 v1, 0x90, v78
	v_lshlrev_b32_e32 v14, 3, v79
	v_add3_u32 v25, 0, v1, v14
	v_perm_b32 v1, v74, v76, s3
	v_pk_mul_lo_u16 v1, v1, s6 op_sel_hi:[1,0]
	v_lshlrev_b32_e32 v14, 3, v77
	v_and_b32_e32 v15, 0xfff0, v1
	v_add3_u32 v26, 0, v15, v14
	v_lshrrev_b32_e32 v1, 16, v1
	v_lshlrev_b32_e32 v14, 3, v75
	v_add3_u32 v37, 0, v1, v14
	v_mov_b32_e32 v1, v43
	ds_write_b64 v20, v[0:1] offset:96
	v_pk_add_f32 v[20:21], v[34:35], v[44:45]
	v_pk_add_f32 v[0:1], v[2:3], v[34:35]
	v_pk_fma_f32 v[2:3], v[20:21], 0.5, v[2:3] op_sel_hi:[1,0,1] neg_lo:[1,0,0] neg_hi:[1,0,0]
	v_pk_add_f32 v[20:21], v[34:35], v[44:45] neg_lo:[0,1] neg_hi:[0,1]
	v_pk_add_f32 v[0:1], v[0:1], v[44:45]
	v_pk_mul_f32 v[20:21], v[20:21], s[2:3] op_sel_hi:[1,0]
	v_pk_add_f32 v[18:19], v[18:19], v[56:57]
	v_pk_add_f32 v[22:23], v[2:3], v[20:21] op_sel:[0,1] op_sel_hi:[1,0] neg_lo:[0,1] neg_hi:[0,1]
	v_pk_add_f32 v[2:3], v[2:3], v[20:21] op_sel:[0,1] op_sel_hi:[1,0]
	v_mov_b32_e32 v20, v22
	v_mov_b32_e32 v21, v3
	v_mov_b32_e32 v3, v23
	ds_write2_b64 v24, v[0:1], v[20:21] offset1:6
	ds_write_b64 v24, v[2:3] offset:96
	v_pk_add_f32 v[0:1], v[70:71], v[56:57]
	v_pk_add_f32 v[2:3], v[70:71], v[56:57] neg_lo:[0,1] neg_hi:[0,1]
	v_pk_fma_f32 v[0:1], v[0:1], 0.5, v[62:63] op_sel_hi:[1,0,1] neg_lo:[1,0,0] neg_hi:[1,0,0]
	v_pk_mul_f32 v[2:3], v[2:3], s[2:3] op_sel_hi:[1,0]
	v_pk_add_f32 v[16:17], v[52:53], v[58:59]
	v_pk_add_f32 v[20:21], v[0:1], v[2:3] op_sel:[0,1] op_sel_hi:[1,0] neg_lo:[0,1] neg_hi:[0,1]
	v_pk_add_f32 v[0:1], v[0:1], v[2:3] op_sel:[0,1] op_sel_hi:[1,0]
	v_mov_b32_e32 v2, v20
	v_mov_b32_e32 v3, v1
	v_mov_b32_e32 v1, v21
	ds_write2_b64 v25, v[18:19], v[2:3] offset1:6
	ds_write_b64 v25, v[0:1] offset:96
	v_pk_add_f32 v[0:1], v[58:59], v[68:69]
	v_pk_add_f32 v[2:3], v[58:59], v[68:69] neg_lo:[0,1] neg_hi:[0,1]
	v_pk_fma_f32 v[0:1], v[0:1], 0.5, v[52:53] op_sel_hi:[1,0,1] neg_lo:[1,0,0] neg_hi:[1,0,0]
	;; [unrolled: 12-line block ×3, first 2 shown]
	v_pk_mul_f32 v[2:3], v[2:3], s[2:3] op_sel_hi:[1,0]
	v_pk_add_f32 v[14:15], v[60:61], v[66:67]
	v_pk_add_f32 v[16:17], v[0:1], v[2:3] op_sel:[0,1] op_sel_hi:[1,0] neg_lo:[0,1] neg_hi:[0,1]
	v_pk_add_f32 v[0:1], v[0:1], v[2:3] op_sel:[0,1] op_sel_hi:[1,0]
	v_mov_b32_e32 v18, 57
	v_mov_b32_e32 v3, v1
	;; [unrolled: 1-line block ×3, first 2 shown]
	v_pk_add_f32 v[14:15], v[14:15], v[64:65]
	v_mov_b32_e32 v2, v16
	ds_write_b64 v37, v[0:1] offset:96
	v_mul_lo_u16_sdwa v0, v50, v18 dst_sel:DWORD dst_unused:UNUSED_PAD src0_sel:BYTE_0 src1_sel:DWORD
	s_mov_b32 s6, 0xe38f
	ds_write2_b64 v37, v[14:15], v[2:3] offset1:6
	v_lshrrev_b16_e32 v37, 10, v0
	v_mul_u32_u24_sdwa v0, v6, s6 dst_sel:DWORD dst_unused:UNUSED_PAD src0_sel:WORD_0 src1_sel:DWORD
	v_mul_lo_u16_e32 v14, 18, v37
	v_lshrrev_b32_e32 v68, 20, v0
	v_mul_lo_u16_e32 v0, 18, v68
	v_sub_u16_e32 v70, v50, v14
	v_sub_u16_e32 v69, v6, v0
	v_lshlrev_b32_sdwa v6, v13, v70 dst_sel:DWORD dst_unused:UNUSED_PAD src0_sel:DWORD src1_sel:BYTE_0
	s_waitcnt lgkmcnt(0)
	s_barrier
	global_load_dwordx4 v[14:17], v6, s[4:5] offset:128
	v_mul_lo_u16_sdwa v6, v30, v18 dst_sel:DWORD dst_unused:UNUSED_PAD src0_sel:BYTE_0 src1_sel:DWORD
	v_lshlrev_b32_e32 v0, 4, v69
	v_lshrrev_b16_e32 v71, 10, v6
	global_load_dwordx4 v[0:3], v0, s[4:5] offset:128
	v_mul_lo_u16_e32 v6, 18, v71
	v_sub_u16_e32 v72, v30, v6
	v_lshlrev_b32_sdwa v6, v13, v72 dst_sel:DWORD dst_unused:UNUSED_PAD src0_sel:DWORD src1_sel:BYTE_0
	global_load_dwordx4 v[18:21], v6, s[4:5] offset:128
	v_mul_u32_u24_sdwa v6, v4, s6 dst_sel:DWORD dst_unused:UNUSED_PAD src0_sel:WORD_0 src1_sel:DWORD
	v_lshrrev_b32_e32 v73, 20, v6
	v_mul_lo_u16_e32 v6, 18, v73
	v_sub_u16_e32 v74, v4, v6
	v_lshlrev_b32_e32 v4, 4, v74
	global_load_dwordx4 v[22:25], v4, s[4:5] offset:128
	v_mul_u32_u24_sdwa v4, v49, s6 dst_sel:DWORD dst_unused:UNUSED_PAD src0_sel:WORD_0 src1_sel:DWORD
	v_lshrrev_b32_e32 v75, 20, v4
	v_mul_lo_u16_e32 v4, 18, v75
	v_sub_u16_e32 v76, v49, v4
	v_lshlrev_b32_e32 v4, 4, v76
	global_load_dwordx4 v[38:41], v4, s[4:5] offset:128
	ds_read2_b64 v[42:45], v7 offset0:112 offset1:238
	ds_read2_b64 v[52:55], v11 offset0:118 offset1:244
	;; [unrolled: 1-line block ×3, first 2 shown]
	s_waitcnt vmcnt(3) lgkmcnt(2)
	v_pk_mul_f32 v[6:7], v[44:45], v[0:1] op_sel:[0,1]
	s_nop 0
	v_pk_fma_f32 v[12:13], v[44:45], v[0:1], v[6:7] op_sel:[0,0,1] op_sel_hi:[1,1,0]
	v_pk_fma_f32 v[6:7], v[44:45], v[0:1], v[6:7] op_sel:[0,0,1] op_sel_hi:[1,0,0] neg_lo:[0,0,1] neg_hi:[0,0,1]
	s_waitcnt lgkmcnt(1)
	v_pk_mul_f32 v[0:1], v[14:15], v[54:55] op_sel:[0,1]
	v_mov_b32_e32 v4, v3
	v_pk_fma_f32 v[26:27], v[14:15], v[54:55], v[0:1] op_sel:[0,0,1] op_sel_hi:[1,1,0]
	v_pk_fma_f32 v[14:15], v[14:15], v[54:55], v[0:1] op_sel:[0,0,1] op_sel_hi:[1,0,0] neg_lo:[1,0,0] neg_hi:[1,0,0]
	s_waitcnt lgkmcnt(0)
	v_pk_mul_f32 v[0:1], v[16:17], v[58:59] op_sel:[0,1]
	v_mov_b32_e32 v13, v7
	v_pk_fma_f32 v[44:45], v[16:17], v[58:59], v[0:1] op_sel:[0,0,1] op_sel_hi:[1,1,0]
	v_pk_fma_f32 v[16:17], v[16:17], v[58:59], v[0:1] op_sel:[0,0,1] op_sel_hi:[1,0,0] neg_lo:[1,0,0] neg_hi:[1,0,0]
	s_waitcnt vmcnt(2)
	v_pk_mul_f32 v[0:1], v[18:19], v[52:53] op_sel:[0,1]
	s_waitcnt vmcnt(1)
	v_pk_mul_f32 v[34:35], v[42:43], v[22:23] op_sel:[0,1]
	v_pk_fma_f32 v[54:55], v[18:19], v[52:53], v[0:1] op_sel:[0,0,1] op_sel_hi:[1,1,0]
	v_pk_fma_f32 v[18:19], v[18:19], v[52:53], v[0:1] op_sel:[0,0,1] op_sel_hi:[1,0,0] neg_lo:[1,0,0] neg_hi:[1,0,0]
	v_pk_mul_f32 v[0:1], v[20:21], v[56:57] op_sel:[0,1]
	v_pk_fma_f32 v[64:65], v[42:43], v[22:23], v[34:35] op_sel:[0,0,1] op_sel_hi:[1,1,0]
	v_pk_fma_f32 v[52:53], v[20:21], v[56:57], v[0:1] op_sel:[0,0,1] op_sel_hi:[1,1,0]
	v_pk_fma_f32 v[20:21], v[20:21], v[56:57], v[0:1] op_sel:[0,0,1] op_sel_hi:[1,0,0] neg_lo:[1,0,0] neg_hi:[1,0,0]
	ds_read_b64 v[0:1], v48 offset:14112
	ds_read_b64 v[56:57], v31
	ds_read_b64 v[58:59], v5
	ds_read_b64 v[60:61], v48 offset:2016
	v_pk_fma_f32 v[22:23], v[42:43], v[22:23], v[34:35] op_sel:[0,0,1] op_sel_hi:[1,0,0] neg_lo:[0,0,1] neg_hi:[0,0,1]
	v_mov_b32_e32 v55, v19
	v_mov_b32_e32 v65, v23
	s_waitcnt lgkmcnt(3)
	v_pk_mul_f32 v[4:5], v[0:1], v[4:5] op_sel_hi:[1,0]
	v_mov_b32_e32 v53, v21
	v_pk_fma_f32 v[62:63], v[0:1], v[2:3], v[4:5] op_sel:[0,0,1] op_sel_hi:[1,1,0]
	v_pk_fma_f32 v[4:5], v[0:1], v[2:3], v[4:5] op_sel:[0,0,1] op_sel_hi:[1,0,0] neg_lo:[0,0,1] neg_hi:[0,0,1]
	ds_read2_b64 v[0:3], v9 offset0:104 offset1:230
	v_mov_b32_e32 v4, v25
	v_mov_b32_e32 v63, v5
	v_pk_add_f32 v[6:7], v[12:13], v[62:63] neg_lo:[0,1] neg_hi:[0,1]
	v_mov_b32_e32 v45, v17
	s_waitcnt lgkmcnt(0)
	v_pk_mul_f32 v[34:35], v[2:3], v[4:5] op_sel_hi:[1,0]
	v_pk_mul_f32 v[6:7], v[6:7], s[2:3] op_sel_hi:[1,0]
	v_pk_fma_f32 v[42:43], v[2:3], v[24:25], v[34:35] op_sel:[0,0,1] op_sel_hi:[1,1,0]
	v_pk_fma_f32 v[2:3], v[2:3], v[24:25], v[34:35] op_sel:[0,0,1] op_sel_hi:[1,0,0] neg_lo:[0,0,1] neg_hi:[0,0,1]
	ds_read2_b32 v[24:25], v10 offset0:228 offset1:229
	s_waitcnt vmcnt(0)
	v_mov_b32_e32 v2, v41
	v_pk_mul_f32 v[34:35], v[0:1], v[2:3] op_sel_hi:[1,0]
	v_lshlrev_b32_sdwa v2, v51, v72 dst_sel:DWORD dst_unused:UNUSED_PAD src0_sel:DWORD src1_sel:BYTE_0
	v_pk_fma_f32 v[66:67], v[0:1], v[40:41], v[34:35] op_sel:[0,0,1] op_sel_hi:[1,1,0]
	v_pk_fma_f32 v[0:1], v[0:1], v[40:41], v[34:35] op_sel:[0,0,1] op_sel_hi:[1,0,0] neg_lo:[0,0,1] neg_hi:[0,0,1]
	v_mov_b32_e32 v43, v3
	s_waitcnt lgkmcnt(0)
	v_mov_b32_e32 v0, v25
	v_pk_mul_f32 v[34:35], v[0:1], v[38:39] op_sel_hi:[0,1]
	v_mul_u32_u24_e32 v0, 0x1b0, v71
	v_add3_u32 v9, 0, v0, v2
	v_mul_u32_u24_e32 v0, 0x1b0, v37
	v_lshlrev_b32_sdwa v2, v51, v70 dst_sel:DWORD dst_unused:UNUSED_PAD src0_sel:DWORD src1_sel:BYTE_0
	v_add3_u32 v20, 0, v0, v2
	v_perm_b32 v0, v73, v75, s3
	s_movk_i32 s3, 0x1b0
	v_pk_mul_lo_u16 v0, v0, s3 op_sel_hi:[1,0]
	v_lshlrev_b32_e32 v2, 3, v76
	v_and_b32_e32 v3, 0xfff0, v0
	v_pk_add_f32 v[4:5], v[12:13], v[62:63]
	v_add3_u32 v22, 0, v3, v2
	v_lshrrev_b32_e32 v0, 16, v0
	v_lshlrev_b32_e32 v2, 3, v74
	v_pk_fma_f32 v[4:5], v[4:5], 0.5, v[58:59] op_sel_hi:[1,0,1] neg_lo:[1,0,0] neg_hi:[1,0,0]
	v_add3_u32 v23, 0, v0, v2
	v_pk_add_f32 v[2:3], v[56:57], v[64:65]
	v_pk_fma_f32 v[40:41], v[38:39], v[24:25], v[34:35] op_sel:[0,0,1] op_sel_hi:[1,1,0]
	v_pk_fma_f32 v[24:25], v[38:39], v[24:25], v[34:35] op_sel:[0,0,1] op_sel_hi:[1,0,0] neg_lo:[1,0,0] neg_hi:[1,0,0]
	v_pk_add_f32 v[34:35], v[4:5], v[6:7] op_sel:[0,1] op_sel_hi:[1,0]
	v_pk_add_f32 v[46:47], v[4:5], v[6:7] op_sel:[0,1] op_sel_hi:[1,0] neg_lo:[0,1] neg_hi:[0,1]
	v_pk_add_f32 v[4:5], v[2:3], v[42:43]
	v_mov_b32_e32 v67, v1
	ds_read2_b64 v[0:3], v48 offset1:126
	v_pk_add_f32 v[16:17], v[54:55], v[52:53]
	v_mov_b32_e32 v27, v15
	s_waitcnt lgkmcnt(0)
	s_barrier
	v_pk_add_f32 v[14:15], v[0:1], v[54:55]
	v_pk_fma_f32 v[0:1], v[16:17], 0.5, v[0:1] op_sel_hi:[1,0,1] neg_lo:[1,0,0] neg_hi:[1,0,0]
	v_pk_add_f32 v[16:17], v[54:55], v[52:53] neg_lo:[0,1] neg_hi:[0,1]
	v_pk_add_f32 v[14:15], v[14:15], v[52:53]
	v_pk_mul_f32 v[16:17], v[16:17], s[2:3] op_sel_hi:[1,0]
	s_nop 0
	v_pk_add_f32 v[18:19], v[0:1], v[16:17] op_sel:[0,1] op_sel_hi:[1,0] neg_lo:[0,1] neg_hi:[0,1]
	v_pk_add_f32 v[0:1], v[0:1], v[16:17] op_sel:[0,1] op_sel_hi:[1,0]
	v_mov_b32_e32 v16, v18
	v_mov_b32_e32 v17, v1
	;; [unrolled: 1-line block ×3, first 2 shown]
	ds_write_b64 v9, v[0:1] offset:288
	v_pk_add_f32 v[0:1], v[26:27], v[44:45]
	ds_write2_b64 v9, v[14:15], v[16:17] offset1:18
	v_pk_add_f32 v[14:15], v[2:3], v[26:27]
	v_pk_fma_f32 v[0:1], v[0:1], 0.5, v[2:3] op_sel_hi:[1,0,1] neg_lo:[1,0,0] neg_hi:[1,0,0]
	v_pk_add_f32 v[2:3], v[26:27], v[44:45] neg_lo:[0,1] neg_hi:[0,1]
	v_mov_b32_e32 v41, v25
	v_pk_mul_f32 v[2:3], v[2:3], s[2:3] op_sel_hi:[1,0]
	v_pk_add_f32 v[14:15], v[14:15], v[44:45]
	v_pk_add_f32 v[16:17], v[0:1], v[2:3] op_sel:[0,1] op_sel_hi:[1,0] neg_lo:[0,1] neg_hi:[0,1]
	v_pk_add_f32 v[0:1], v[0:1], v[2:3] op_sel:[0,1] op_sel_hi:[1,0]
	v_mov_b32_e32 v2, v16
	v_mov_b32_e32 v3, v1
	v_mov_b32_e32 v1, v17
	ds_write2_b64 v20, v[14:15], v[2:3] offset1:18
	ds_write_b64 v20, v[0:1] offset:288
	v_pk_add_f32 v[0:1], v[40:41], v[66:67]
	v_pk_add_f32 v[2:3], v[40:41], v[66:67] neg_lo:[0,1] neg_hi:[0,1]
	v_pk_fma_f32 v[0:1], v[0:1], 0.5, v[60:61] op_sel_hi:[1,0,1] neg_lo:[1,0,0] neg_hi:[1,0,0]
	v_pk_mul_f32 v[2:3], v[2:3], s[2:3] op_sel_hi:[1,0]
	v_pk_add_f32 v[6:7], v[60:61], v[40:41]
	v_pk_add_f32 v[14:15], v[0:1], v[2:3] op_sel:[0,1] op_sel_hi:[1,0] neg_lo:[0,1] neg_hi:[0,1]
	v_pk_add_f32 v[0:1], v[0:1], v[2:3] op_sel:[0,1] op_sel_hi:[1,0]
	v_pk_add_f32 v[6:7], v[6:7], v[66:67]
	v_mov_b32_e32 v2, v14
	v_mov_b32_e32 v3, v1
	;; [unrolled: 1-line block ×3, first 2 shown]
	ds_write2_b64 v22, v[6:7], v[2:3] offset1:18
	ds_write_b64 v22, v[0:1] offset:288
	v_pk_add_f32 v[0:1], v[64:65], v[42:43]
	v_pk_add_f32 v[2:3], v[64:65], v[42:43] neg_lo:[0,1] neg_hi:[0,1]
	v_pk_fma_f32 v[0:1], v[0:1], 0.5, v[56:57] op_sel_hi:[1,0,1] neg_lo:[1,0,0] neg_hi:[1,0,0]
	v_pk_mul_f32 v[2:3], v[2:3], s[2:3] op_sel_hi:[1,0]
                                        ; implicit-def: $vgpr40
                                        ; implicit-def: $vgpr38
                                        ; implicit-def: $vgpr44
                                        ; implicit-def: $vgpr42
	s_nop 0
	v_pk_add_f32 v[6:7], v[0:1], v[2:3] op_sel:[0,1] op_sel_hi:[1,0] neg_lo:[0,1] neg_hi:[0,1]
	v_pk_add_f32 v[0:1], v[0:1], v[2:3] op_sel:[0,1] op_sel_hi:[1,0]
	v_mov_b32_e32 v2, v6
	v_mov_b32_e32 v3, v1
	;; [unrolled: 1-line block ×3, first 2 shown]
	ds_write_b64 v23, v[0:1] offset:288
	v_mul_u32_u24_e32 v0, 0x1b0, v68
	v_lshlrev_b32_e32 v1, 3, v69
	ds_write2_b64 v23, v[4:5], v[2:3] offset1:18
	v_add3_u32 v4, 0, v0, v1
	v_pk_add_f32 v[0:1], v[58:59], v[12:13]
	v_mov_b32_e32 v2, v46
	v_pk_add_f32 v[0:1], v[0:1], v[62:63]
	v_mov_b32_e32 v3, v35
	v_mov_b32_e32 v35, v47
	ds_write2_b64 v4, v[0:1], v[2:3] offset1:18
	ds_write_b64 v4, v[34:35] offset:288
	v_add_u32_e32 v4, 0x800, v48
	s_waitcnt lgkmcnt(0)
	s_barrier
	ds_read2_b64 v[0:3], v48 offset1:126
	ds_read2_b64 v[24:27], v4 offset0:14 offset1:140
	ds_read2_b64 v[20:23], v11 offset0:28 offset1:154
	;; [unrolled: 1-line block ×4, first 2 shown]
	v_add_u32_e32 v4, 0x2800, v48
	ds_read2_b64 v[8:11], v4 offset0:70 offset1:196
	ds_read2_b64 v[4:7], v36 offset0:84 offset1:210
                                        ; implicit-def: $vgpr36
	s_and_saveexec_b64 s[2:3], vcc
	s_cbranch_execz .LBB0_23
; %bb.22:
	ds_read_b64 v[34:35], v48 offset:2016
	ds_read_b64 v[32:33], v48 offset:4176
	;; [unrolled: 1-line block ×7, first 2 shown]
	s_waitcnt lgkmcnt(6)
	v_mov_b32_e32 v47, v35
.LBB0_23:
	s_or_b64 exec, exec, s[2:3]
	v_mov_b32_e32 v35, 19
	v_mul_lo_u16_sdwa v52, v50, v35 dst_sel:DWORD dst_unused:UNUSED_PAD src0_sel:BYTE_0 src1_sel:DWORD
	v_lshrrev_b16_e32 v85, 10, v52
	v_mul_lo_u16_e32 v52, 54, v85
	v_mov_b32_e32 v46, 6
	v_sub_u16_e32 v92, v50, v52
	v_mul_u32_u24_sdwa v52, v92, v46 dst_sel:DWORD dst_unused:UNUSED_PAD src0_sel:BYTE_0 src1_sel:DWORD
	v_lshlrev_b32_e32 v76, 3, v52
	v_mul_lo_u16_sdwa v35, v30, v35 dst_sel:DWORD dst_unused:UNUSED_PAD src0_sel:BYTE_0 src1_sel:DWORD
	global_load_dwordx4 v[52:55], v76, s[4:5] offset:416
	v_lshrrev_b16_e32 v35, 10, v35
	v_mul_lo_u16_e32 v56, 54, v35
	v_sub_u16_e32 v93, v30, v56
	v_mul_u32_u24_sdwa v46, v93, v46 dst_sel:DWORD dst_unused:UNUSED_PAD src0_sel:BYTE_0 src1_sel:DWORD
	v_lshlrev_b32_e32 v46, 3, v46
	global_load_dwordx4 v[56:59], v46, s[4:5] offset:416
	global_load_dwordx4 v[60:63], v76, s[4:5] offset:448
	global_load_dwordx4 v[64:67], v76, s[4:5] offset:432
	global_load_dwordx4 v[68:71], v46, s[4:5] offset:432
	global_load_dwordx4 v[72:75], v46, s[4:5] offset:448
	s_waitcnt lgkmcnt(5)
	v_mov_b32_e32 v46, v27
	s_waitcnt lgkmcnt(4)
	v_mov_b32_e32 v76, v23
	v_mov_b32_e32 v78, v25
	;; [unrolled: 1-line block ×3, first 2 shown]
	s_waitcnt lgkmcnt(0)
	v_mov_b32_e32 v84, v7
	v_mov_b32_e32 v82, v11
	s_mov_b32 s8, 0x3f08b237
	s_mov_b32 s10, 0x3d64c772
	;; [unrolled: 1-line block ×12, first 2 shown]
	s_barrier
	s_waitcnt vmcnt(5)
	v_pk_mul_f32 v[86:87], v[52:53], v[26:27] op_sel_hi:[1,0]
	v_pk_mul_f32 v[88:89], v[54:55], v[22:23] op_sel_hi:[1,0]
	v_pk_fma_f32 v[90:91], v[52:53], v[46:47], v[86:87] op_sel:[0,0,1] op_sel_hi:[1,1,0] neg_lo:[0,0,1] neg_hi:[0,0,1]
	v_pk_fma_f32 v[26:27], v[52:53], v[26:27], v[86:87] op_sel:[0,1,1] op_sel_hi:[1,1,0]
	v_pk_fma_f32 v[52:53], v[54:55], v[76:77], v[88:89] op_sel:[0,0,1] op_sel_hi:[1,1,0] neg_lo:[0,0,1] neg_hi:[0,0,1]
	s_waitcnt vmcnt(4)
	v_pk_mul_f32 v[76:77], v[56:57], v[24:25] op_sel_hi:[1,0]
	v_pk_fma_f32 v[22:23], v[54:55], v[22:23], v[88:89] op_sel:[0,1,1] op_sel_hi:[1,1,0]
	v_pk_fma_f32 v[24:25], v[56:57], v[24:25], v[76:77] op_sel:[0,1,1] op_sel_hi:[1,1,0]
	v_pk_fma_f32 v[56:57], v[56:57], v[78:79], v[76:77] op_sel:[0,0,1] op_sel_hi:[1,1,0] neg_lo:[0,0,1] neg_hi:[0,0,1]
	v_pk_mul_f32 v[76:77], v[58:59], v[20:21] op_sel_hi:[1,0]
	s_waitcnt vmcnt(3)
	v_pk_mul_f32 v[78:79], v[10:11], v[60:61] op_sel_hi:[0,1]
	v_pk_fma_f32 v[20:21], v[58:59], v[20:21], v[76:77] op_sel:[0,1,1] op_sel_hi:[1,1,0]
	v_pk_fma_f32 v[58:59], v[58:59], v[80:81], v[76:77] op_sel:[0,0,1] op_sel_hi:[1,1,0] neg_lo:[0,0,1] neg_hi:[0,0,1]
	v_pk_mul_f32 v[76:77], v[6:7], v[62:63] op_sel_hi:[0,1]
	s_waitcnt vmcnt(2)
	v_pk_mul_f32 v[80:81], v[18:19], v[64:65] op_sel:[1,0] op_sel_hi:[0,1]
	v_pk_fma_f32 v[6:7], v[6:7], v[62:63], v[76:77] op_sel:[1,0,1] op_sel_hi:[1,1,0]
	v_mov_b32_e32 v20, v65
	v_mov_b32_e32 v6, v81
	v_pk_fma_f32 v[82:83], v[82:83], v[60:61], v[78:79] op_sel:[0,0,1] op_sel_hi:[1,1,0] neg_lo:[0,0,1] neg_hi:[0,0,1]
	v_pk_fma_f32 v[10:11], v[10:11], v[60:61], v[78:79] op_sel:[1,0,1] op_sel_hi:[1,1,0]
	v_pk_fma_f32 v[60:61], v[84:85], v[62:63], v[76:77] op_sel:[0,0,1] op_sel_hi:[1,1,0] neg_lo:[0,0,1] neg_hi:[0,0,1]
	v_pk_mul_f32 v[62:63], v[18:19], v[64:65]
	v_pk_mul_f32 v[76:77], v[18:19], v[20:21] op_sel:[1,0] op_sel_hi:[0,1]
	v_pk_fma_f32 v[18:19], v[18:19], v[64:65], v[6:7] op_sel:[1,0,0] op_sel_hi:[0,1,1] neg_lo:[0,0,1] neg_hi:[0,0,1]
	v_pk_mul_f32 v[64:65], v[14:15], v[66:67] op_sel:[1,0] op_sel_hi:[0,1]
	v_mov_b32_e32 v54, v17
	v_mov_b32_e32 v55, v16
	;; [unrolled: 1-line block ×3, first 2 shown]
	v_pk_mul_f32 v[78:79], v[14:15], v[66:67]
	v_pk_fma_f32 v[64:65], v[14:15], v[66:67], v[6:7] op_sel:[1,0,0] op_sel_hi:[0,1,1] neg_lo:[0,0,1] neg_hi:[0,0,1]
	v_mov_b32_e32 v6, v67
	s_waitcnt vmcnt(1)
	v_pk_mul_f32 v[66:67], v[68:69], v[54:55]
	v_pk_mul_f32 v[14:15], v[14:15], v[6:7] op_sel:[1,0] op_sel_hi:[0,1]
	v_mov_b32_e32 v6, v67
	v_pk_fma_f32 v[66:67], v[68:69], v[54:55], v[6:7] neg_lo:[0,0,1] neg_hi:[0,0,1]
	v_mov_b32_e32 v6, v69
	v_mov_b32_e32 v91, v27
	;; [unrolled: 1-line block ×5, first 2 shown]
	v_pk_mul_f32 v[54:55], v[6:7], v[54:55]
	v_pk_add_f32 v[6:7], v[90:91], v[60:61]
	v_pk_mul_f32 v[80:81], v[70:71], v[86:87]
	v_mov_b32_e32 v59, v21
	v_mov_b32_e32 v6, v9
	s_waitcnt vmcnt(0)
	v_pk_mul_f32 v[20:21], v[72:73], v[8:9] op_sel_hi:[1,0]
	v_mov_b32_e32 v10, v81
	v_mov_b32_e32 v57, v25
	v_pk_fma_f32 v[24:25], v[72:73], v[6:7], v[20:21] op_sel:[0,0,1] op_sel_hi:[1,1,0] neg_lo:[0,0,1] neg_hi:[0,0,1]
	v_pk_fma_f32 v[8:9], v[72:73], v[8:9], v[20:21] op_sel:[0,1,1] op_sel_hi:[1,1,0]
	v_pk_mul_f32 v[12:13], v[70:71], v[12:13] op_sel_hi:[1,0]
	v_pk_fma_f32 v[80:81], v[70:71], v[86:87], v[10:11] neg_lo:[0,0,1] neg_hi:[0,0,1]
	v_mov_b32_e32 v10, v71
	v_mov_b32_e32 v25, v9
	;; [unrolled: 1-line block ×3, first 2 shown]
	v_pk_mul_f32 v[8:9], v[74:75], v[4:5] op_sel_hi:[1,0]
	v_pk_mul_f32 v[16:17], v[68:69], v[16:17] op_sel_hi:[1,0]
	v_mul_u32_u24_e32 v13, 0xbd0, v35
	v_lshlrev_b32_sdwa v15, v51, v93 dst_sel:DWORD dst_unused:UNUSED_PAD src0_sel:DWORD src1_sel:BYTE_0
	v_pk_mul_f32 v[68:69], v[10:11], v[86:87]
	v_pk_fma_f32 v[20:21], v[74:75], v[6:7], v[8:9] op_sel:[0,0,1] op_sel_hi:[1,1,0] neg_lo:[0,0,1] neg_hi:[0,0,1]
	v_add3_u32 v35, 0, v13, v15
	v_mov_b32_e32 v13, v56
	v_mov_b32_e32 v69, v20
	;; [unrolled: 1-line block ×4, first 2 shown]
	v_pk_fma_f32 v[4:5], v[74:75], v[4:5], v[8:9] op_sel:[0,1,1] op_sel_hi:[1,1,0]
	v_pk_add_f32 v[12:13], v[12:13], v[68:69]
	v_pk_add_f32 v[16:17], v[16:17], v[54:55]
	v_mov_b32_e32 v53, v23
	v_mov_b32_e32 v83, v11
	;; [unrolled: 1-line block ×7, first 2 shown]
	v_pk_add_f32 v[22:23], v[52:53], v[82:83]
	v_pk_add_f32 v[26:27], v[52:53], v[82:83] neg_lo:[0,1] neg_hi:[0,1]
	v_pk_add_f32 v[52:53], v[62:63], v[76:77]
	v_pk_add_f32 v[4:5], v[56:57], v[20:21]
	v_pk_add_f32 v[8:9], v[56:57], v[20:21] neg_lo:[0,1] neg_hi:[0,1]
	v_pk_add_f32 v[62:63], v[58:59], v[24:25] neg_lo:[0,1] neg_hi:[0,1]
	;; [unrolled: 1-line block ×3, first 2 shown]
	v_mov_b32_e32 v15, v60
	v_pk_add_f32 v[10:11], v[90:91], v[60:61] neg_lo:[0,1] neg_hi:[0,1]
	v_pk_add_f32 v[60:61], v[58:59], v[24:25]
	v_mov_b32_e32 v24, v20
	v_mov_b32_e32 v25, v9
	v_mov_b32_e32 v54, v62
	v_mov_b32_e32 v55, v21
	v_pk_add_f32 v[24:25], v[24:25], v[54:55] neg_lo:[0,1] neg_hi:[0,1]
	v_mov_b32_e32 v54, v8
	v_mov_b32_e32 v56, v20
	;; [unrolled: 1-line block ×3, first 2 shown]
	v_pk_add_f32 v[54:55], v[54:55], v[56:57] neg_lo:[0,1] neg_hi:[0,1]
	v_mov_b32_e32 v56, v61
	v_mov_b32_e32 v57, v66
	;; [unrolled: 1-line block ×4, first 2 shown]
	v_pk_add_f32 v[56:57], v[56:57], v[58:59]
	v_pk_add_f32 v[58:59], v[16:17], v[12:13]
	v_mov_b32_e32 v66, v61
	v_mov_b32_e32 v12, v58
	;; [unrolled: 1-line block ×3, first 2 shown]
	v_pk_add_f32 v[66:67], v[12:13], v[66:67] neg_lo:[0,1] neg_hi:[0,1]
	v_mov_b32_e32 v68, v5
	v_mov_b32_e32 v69, v57
	;; [unrolled: 1-line block ×3, first 2 shown]
	v_pk_mul_f32 v[24:25], v[24:25], s[8:9]
	v_pk_add_f32 v[68:69], v[68:69], v[16:17] neg_lo:[0,1] neg_hi:[0,1]
	v_pk_add_f32 v[56:57], v[56:57], v[58:59]
	v_pk_mul_f32 v[58:59], v[66:67], s[10:11]
	v_pk_add_f32 v[20:21], v[20:21], v[62:63]
	v_pk_fma_f32 v[66:67], v[68:69], s[12:13], v[58:59]
	v_pk_fma_f32 v[70:71], v[54:55], s[6:7], v[24:25]
	v_lshlrev_b32_sdwa v4, v51, v92 dst_sel:DWORD dst_unused:UNUSED_PAD src0_sel:DWORD src1_sel:BYTE_0
	v_mul_u32_u24_e32 v6, 0xbd0, v85
	v_pk_mul_f32 v[54:55], v[54:55], s[6:7]
	v_pk_mul_f32 v[68:69], v[68:69], s[12:13]
	v_mov_b32_e32 v16, v61
	v_mov_b32_e32 v12, v5
	v_pk_add_f32 v[20:21], v[20:21], v[8:9]
	v_pk_add_f32 v[0:1], v[56:57], v[0:1]
	v_add3_u32 v22, 0, v6, v4
	v_pk_add_f32 v[8:9], v[62:63], v[8:9] neg_lo:[0,1] neg_hi:[0,1]
	v_pk_add_f32 v[4:5], v[16:17], v[12:13] neg_lo:[0,1] neg_hi:[0,1]
	v_mov_b32_e32 v12, v68
	v_mov_b32_e32 v13, v59
	;; [unrolled: 1-line block ×6, first 2 shown]
	v_pk_fma_f32 v[56:57], v[56:57], s[18:19], v[0:1] op_sel_hi:[1,0,1] neg_lo:[1,0,0] neg_hi:[1,0,0]
	v_pk_fma_f32 v[12:13], v[4:5], s[16:17], v[12:13] op_sel_hi:[1,0,1] neg_lo:[1,0,1] neg_hi:[1,0,1]
	;; [unrolled: 1-line block ×5, first 2 shown]
	v_pk_add_f32 v[12:13], v[12:13], v[56:57]
	v_pk_fma_f32 v[16:17], v[20:21], s[2:3], v[16:17] op_sel_hi:[1,0,1]
	v_pk_add_f32 v[4:5], v[4:5], v[56:57]
	v_pk_fma_f32 v[8:9], v[20:21], s[2:3], v[8:9] op_sel_hi:[1,0,1]
	v_mov_b32_e32 v79, v90
	v_pk_add_f32 v[66:67], v[66:67], v[56:57]
	v_pk_fma_f32 v[70:71], v[20:21], s[2:3], v[70:71] op_sel_hi:[1,0,1]
	v_pk_add_f32 v[60:61], v[12:13], v[16:17]
	v_pk_add_f32 v[12:13], v[12:13], v[16:17] neg_lo:[0,1] neg_hi:[0,1]
	v_pk_add_f32 v[20:21], v[4:5], v[8:9] neg_lo:[0,1] neg_hi:[0,1]
	v_pk_add_f32 v[4:5], v[4:5], v[8:9]
	v_pk_add_f32 v[14:15], v[78:79], v[14:15]
	;; [unrolled: 1-line block ×3, first 2 shown]
	v_pk_add_f32 v[66:67], v[66:67], v[70:71] neg_lo:[0,1] neg_hi:[0,1]
	v_mov_b32_e32 v16, v60
	v_mov_b32_e32 v17, v13
	;; [unrolled: 1-line block ×6, first 2 shown]
	v_add_u32_e32 v6, 0x400, v35
	v_mov_b32_e32 v65, v14
	v_mov_b32_e32 v19, v52
	;; [unrolled: 1-line block ×4, first 2 shown]
	ds_write2_b64 v35, v[16:17], v[8:9] offset0:108 offset1:162
	ds_write2_b64 v6, v[4:5], v[12:13] offset0:88 offset1:142
	v_mov_b32_e32 v4, v23
	v_mov_b32_e32 v5, v18
	;; [unrolled: 1-line block ×4, first 2 shown]
	ds_write2_b64 v35, v[0:1], v[70:71] offset1:54
	v_pk_add_f32 v[0:1], v[64:65], v[18:19] neg_lo:[0,1] neg_hi:[0,1]
	v_pk_add_f32 v[4:5], v[4:5], v[8:9]
	v_pk_add_f32 v[8:9], v[52:53], v[14:15]
	v_mov_b32_e32 v70, v0
	v_mov_b32_e32 v71, v11
	v_mov_b32_e32 v74, v26
	v_mov_b32_e32 v75, v1
	v_mov_b32_e32 v14, v8
	v_mov_b32_e32 v12, v23
	v_mov_b32_e32 v13, v5
	v_pk_add_f32 v[70:71], v[70:71], v[74:75] neg_lo:[0,1] neg_hi:[0,1]
	v_mov_b32_e32 v74, v10
	v_mov_b32_e32 v76, v0
	;; [unrolled: 1-line block ×3, first 2 shown]
	v_pk_add_f32 v[12:13], v[14:15], v[12:13] neg_lo:[0,1] neg_hi:[0,1]
	v_mov_b32_e32 v16, v7
	v_mov_b32_e32 v17, v5
	;; [unrolled: 1-line block ×3, first 2 shown]
	v_pk_add_f32 v[4:5], v[4:5], v[8:9]
	v_pk_add_f32 v[74:75], v[74:75], v[76:77] neg_lo:[0,1] neg_hi:[0,1]
	v_pk_mul_f32 v[70:71], v[70:71], s[8:9]
	v_pk_add_f32 v[0:1], v[0:1], v[26:27]
	v_pk_add_f32 v[16:17], v[16:17], v[52:53] neg_lo:[0,1] neg_hi:[0,1]
	v_pk_add_f32 v[2:3], v[4:5], v[2:3]
	v_pk_mul_f32 v[8:9], v[12:13], s[10:11]
	v_pk_add_f32 v[0:1], v[0:1], v[10:11]
	v_pk_mul_f32 v[12:13], v[16:17], s[12:13]
	v_pk_fma_f32 v[4:5], v[4:5], s[18:19], v[2:3] op_sel_hi:[1,0,1] neg_lo:[1,0,0] neg_hi:[1,0,0]
	v_pk_fma_f32 v[16:17], v[16:17], s[12:13], v[8:9]
	v_pk_fma_f32 v[18:19], v[74:75], s[6:7], v[70:71]
	v_pk_add_f32 v[16:17], v[16:17], v[4:5]
	v_pk_fma_f32 v[18:19], v[0:1], s[2:3], v[18:19] op_sel_hi:[1,0,1]
	v_pk_mul_f32 v[62:63], v[74:75], s[6:7]
	v_pk_add_f32 v[20:21], v[16:17], v[18:19]
	v_pk_add_f32 v[16:17], v[16:17], v[18:19] neg_lo:[0,1] neg_hi:[0,1]
	v_mov_b32_e32 v67, v73
	v_mov_b32_e32 v18, v20
	;; [unrolled: 1-line block ×5, first 2 shown]
	ds_write_b64 v35, v[66:67] offset:2592
	ds_write2_b64 v22, v[2:3], v[18:19] offset1:54
	v_pk_add_f32 v[2:3], v[26:27], v[10:11] neg_lo:[0,1] neg_hi:[0,1]
	v_pk_add_f32 v[6:7], v[52:53], v[14:15] neg_lo:[0,1] neg_hi:[0,1]
	v_mov_b32_e32 v10, v12
	v_mov_b32_e32 v11, v9
	;; [unrolled: 1-line block ×6, first 2 shown]
	v_pk_fma_f32 v[10:11], v[6:7], s[16:17], v[10:11] op_sel_hi:[1,0,1] neg_lo:[1,0,1] neg_hi:[1,0,1]
	v_pk_fma_f32 v[14:15], v[2:3], s[14:15], v[14:15] op_sel_hi:[1,0,1] neg_lo:[1,0,1] neg_hi:[1,0,1]
	v_pk_fma_f32 v[6:7], v[6:7], s[16:17], v[8:9] op_sel_hi:[1,0,1] neg_lo:[0,0,1] neg_hi:[0,0,1]
	v_pk_fma_f32 v[2:3], v[2:3], s[14:15], v[70:71] op_sel_hi:[1,0,1] neg_lo:[0,0,1] neg_hi:[0,0,1]
	v_pk_add_f32 v[10:11], v[10:11], v[4:5]
	v_pk_fma_f32 v[14:15], v[0:1], s[2:3], v[14:15] op_sel_hi:[1,0,1]
	v_pk_add_f32 v[4:5], v[6:7], v[4:5]
	v_pk_fma_f32 v[0:1], v[0:1], s[2:3], v[2:3] op_sel_hi:[1,0,1]
	v_pk_add_f32 v[18:19], v[10:11], v[14:15]
	v_pk_add_f32 v[10:11], v[10:11], v[14:15] neg_lo:[0,1] neg_hi:[0,1]
	v_pk_add_f32 v[2:3], v[4:5], v[0:1] neg_lo:[0,1] neg_hi:[0,1]
	v_pk_add_f32 v[0:1], v[4:5], v[0:1]
	v_mov_b32_e32 v14, v18
	v_mov_b32_e32 v15, v11
	;; [unrolled: 1-line block ×6, first 2 shown]
	v_add_u32_e32 v2, 0x400, v22
	v_mov_b32_e32 v17, v21
	ds_write2_b64 v22, v[14:15], v[4:5] offset0:108 offset1:162
	ds_write2_b64 v2, v[0:1], v[10:11] offset0:88 offset1:142
	ds_write_b64 v22, v[16:17] offset:2592
	s_and_saveexec_b64 s[18:19], vcc
	s_cbranch_execz .LBB0_25
; %bb.24:
	v_lshrrev_b16_e32 v0, 1, v49
	v_mul_u32_u24_e32 v0, 0x97b5, v0
	v_lshrrev_b32_e32 v0, 20, v0
	v_mul_lo_u16_e32 v0, 54, v0
	v_sub_u16_e32 v17, v49, v0
	v_mul_u32_u24_e32 v0, 6, v17
	v_lshlrev_b32_e32 v12, 3, v0
	global_load_dwordx4 v[0:3], v12, s[4:5] offset:416
	global_load_dwordx4 v[4:7], v12, s[4:5] offset:448
	;; [unrolled: 1-line block ×3, first 2 shown]
	v_mov_b32_e32 v12, v41
	v_mov_b32_e32 v13, v40
	;; [unrolled: 1-line block ×8, first 2 shown]
	v_lshl_add_u32 v51, v17, 3, 0
	s_mov_b32 s20, 0xbf955555
	v_add_u32_e32 v56, 0x2c00, v51
	s_waitcnt vmcnt(2)
	v_pk_mul_f32 v[22:23], v[32:33], v[0:1] op_sel_hi:[0,1]
	s_waitcnt vmcnt(1)
	v_pk_mul_f32 v[24:25], v[44:45], v[6:7] op_sel_hi:[0,1]
	s_waitcnt vmcnt(0)
	v_pk_mul_f32 v[26:27], v[40:41], v[10:11]
	v_mov_b32_e32 v40, v11
	v_mov_b32_e32 v44, v9
	v_pk_mul_f32 v[36:37], v[36:37], v[2:3] op_sel_hi:[0,1]
	v_pk_mul_f32 v[42:43], v[42:43], v[4:5] op_sel_hi:[0,1]
	v_pk_mul_f32 v[38:39], v[38:39], v[8:9]
	v_pk_mul_f32 v[46:47], v[14:15], v[8:9]
	;; [unrolled: 1-line block ×5, first 2 shown]
	v_pk_fma_f32 v[54:55], v[16:17], v[6:7], v[24:25] op_sel:[0,0,1] op_sel_hi:[0,1,0] neg_lo:[0,0,1] neg_hi:[0,0,1]
	v_pk_fma_f32 v[6:7], v[16:17], v[6:7], v[24:25] op_sel:[0,0,1] op_sel_hi:[0,1,0]
	v_pk_fma_f32 v[16:17], v[32:33], v[0:1], v[22:23] op_sel:[1,0,1] op_sel_hi:[1,1,0] neg_lo:[0,0,1] neg_hi:[0,0,1]
	v_pk_fma_f32 v[0:1], v[32:33], v[0:1], v[22:23] op_sel:[1,0,1] op_sel_hi:[1,1,0]
	;; [unrolled: 2-line block ×4, first 2 shown]
	v_mov_b32_e32 v46, v47
	v_mov_b32_e32 v52, v53
	;; [unrolled: 1-line block ×10, first 2 shown]
	v_pk_fma_f32 v[8:9], v[14:15], v[8:9], v[46:47] neg_lo:[0,0,1] neg_hi:[0,0,1]
	v_pk_fma_f32 v[10:11], v[12:13], v[10:11], v[52:53] neg_lo:[0,0,1] neg_hi:[0,0,1]
	v_pk_add_f32 v[0:1], v[16:17], v[54:55]
	v_pk_add_f32 v[2:3], v[20:21], v[22:23]
	;; [unrolled: 1-line block ×4, first 2 shown]
	v_pk_add_f32 v[4:5], v[16:17], v[54:55] neg_lo:[0,1] neg_hi:[0,1]
	v_mov_b32_e32 v17, v8
	v_mov_b32_e32 v19, v10
	;; [unrolled: 1-line block ×6, first 2 shown]
	v_pk_add_f32 v[6:7], v[20:21], v[22:23] neg_lo:[0,1] neg_hi:[0,1]
	v_pk_add_f32 v[26:27], v[14:15], v[12:13]
	v_pk_add_f32 v[8:9], v[10:11], v[8:9] neg_lo:[0,1] neg_hi:[0,1]
	v_pk_add_f32 v[10:11], v[16:17], v[18:19]
	v_mov_b32_e32 v20, v4
	v_mov_b32_e32 v23, v7
	v_pk_add_f32 v[32:33], v[6:7], v[4:5] neg_lo:[0,1] neg_hi:[0,1]
	v_mov_b32_e32 v21, v9
	v_mov_b32_e32 v22, v8
	v_pk_add_f32 v[16:17], v[8:9], v[6:7]
	v_mov_b32_e32 v24, v8
	v_mov_b32_e32 v8, v6
	v_pk_add_f32 v[6:7], v[10:11], v[26:27]
	v_mov_b32_e32 v10, v1
	v_mov_b32_e32 v27, v15
	v_mov_b32_e32 v25, v5
	v_pk_add_f32 v[18:19], v[20:21], v[22:23] neg_lo:[0,1] neg_hi:[0,1]
	v_pk_add_f32 v[20:21], v[10:11], v[26:27] neg_lo:[0,1] neg_hi:[0,1]
	v_mov_b32_e32 v27, v13
	v_mov_b32_e32 v10, v3
	v_pk_add_f32 v[8:9], v[24:25], v[8:9] neg_lo:[0,1] neg_hi:[0,1]
	v_pk_add_f32 v[10:11], v[26:27], v[10:11] neg_lo:[0,1] neg_hi:[0,1]
	v_pk_add_f32 v[4:5], v[16:17], v[4:5]
	v_pk_add_f32 v[16:17], v[34:35], v[6:7]
	v_pk_mul_f32 v[8:9], v[8:9], s[8:9]
	v_pk_mul_f32 v[10:11], v[10:11], s[10:11]
	;; [unrolled: 1-line block ×4, first 2 shown]
	v_pk_fma_f32 v[6:7], v[6:7], s[20:21], v[16:17] op_sel_hi:[1,0,1]
	v_pk_fma_f32 v[18:19], v[18:19], s[6:7], v[8:9]
	v_pk_fma_f32 v[20:21], v[20:21], s[12:13], v[10:11]
	v_pk_fma_f32 v[18:19], v[4:5], s[2:3], v[18:19] op_sel_hi:[1,0,1]
	v_pk_add_f32 v[20:21], v[20:21], v[6:7]
	v_mov_b32_e32 v14, v3
	v_pk_add_f32 v[26:27], v[20:21], v[18:19]
	v_pk_add_f32 v[18:19], v[20:21], v[18:19] neg_lo:[0,1] neg_hi:[0,1]
	v_mov_b32_e32 v20, v26
	v_mov_b32_e32 v21, v19
	;; [unrolled: 1-line block ×3, first 2 shown]
	ds_write2_b64 v56, v[16:17], v[20:21] offset0:104 offset1:158
	v_mov_b32_e32 v16, v22
	v_mov_b32_e32 v17, v9
	v_pk_add_f32 v[0:1], v[14:15], v[12:13] neg_lo:[0,1] neg_hi:[0,1]
	v_mov_b32_e32 v2, v24
	v_mov_b32_e32 v3, v11
	;; [unrolled: 1-line block ×4, first 2 shown]
	v_pk_fma_f32 v[16:17], v[32:33], s[14:15], v[16:17] op_sel_hi:[1,0,1] neg_lo:[1,0,1] neg_hi:[1,0,1]
	v_pk_fma_f32 v[2:3], v[0:1], s[16:17], v[2:3] op_sel_hi:[1,0,1] neg_lo:[1,0,1] neg_hi:[1,0,1]
	;; [unrolled: 1-line block ×4, first 2 shown]
	v_pk_fma_f32 v[16:17], v[4:5], s[2:3], v[16:17] op_sel_hi:[1,0,1]
	v_pk_add_f32 v[2:3], v[2:3], v[6:7]
	v_pk_fma_f32 v[4:5], v[4:5], s[2:3], v[8:9] op_sel_hi:[1,0,1]
	v_pk_add_f32 v[0:1], v[0:1], v[6:7]
	v_pk_add_f32 v[12:13], v[2:3], v[16:17]
	v_pk_add_f32 v[2:3], v[2:3], v[16:17] neg_lo:[0,1] neg_hi:[0,1]
	v_pk_add_f32 v[6:7], v[0:1], v[4:5] neg_lo:[0,1] neg_hi:[0,1]
	v_pk_add_f32 v[0:1], v[0:1], v[4:5]
	v_mov_b32_e32 v14, v12
	v_mov_b32_e32 v15, v3
	v_mov_b32_e32 v4, v6
	v_mov_b32_e32 v5, v1
	v_add_u32_e32 v6, 0x3000, v51
	v_mov_b32_e32 v1, v7
	v_mov_b32_e32 v3, v13
	;; [unrolled: 1-line block ×3, first 2 shown]
	ds_write2_b64 v6, v[14:15], v[4:5] offset0:84 offset1:138
	ds_write2_b64 v6, v[0:1], v[2:3] offset0:192 offset1:246
	ds_write_b64 v51, v[18:19] offset:14688
.LBB0_25:
	s_or_b64 exec, exec, s[18:19]
	v_lshlrev_b32_e32 v0, 2, v30
	v_mov_b32_e32 v1, 0
	v_lshl_add_u64 v[10:11], v[0:1], 3, s[4:5]
	v_lshlrev_b32_e32 v0, 2, v50
	s_waitcnt lgkmcnt(0)
	s_barrier
	global_load_dwordx4 v[2:5], v[10:11], off offset:3008
	global_load_dwordx4 v[6:9], v[10:11], off offset:3024
	v_lshl_add_u64 v[18:19], v[0:1], 3, s[4:5]
	global_load_dwordx4 v[10:13], v[18:19], off offset:3008
	global_load_dwordx4 v[14:17], v[18:19], off offset:3024
	v_lshlrev_b32_e32 v0, 2, v49
	v_lshl_add_u64 v[26:27], v[0:1], 3, s[4:5]
	global_load_dwordx4 v[18:21], v[26:27], off offset:3008
	global_load_dwordx4 v[22:25], v[26:27], off offset:3024
	v_add_u32_e32 v40, 0x2000, v48
	v_add_u32_e32 v44, 0x2800, v48
	;; [unrolled: 1-line block ×6, first 2 shown]
	ds_read2_b64 v[32:35], v48 offset1:126
	ds_read_b64 v[26:27], v31
	ds_read_b64 v[58:59], v48 offset:2016
	ds_read2_b64 v[36:39], v0 offset0:118 offset1:244
	ds_read2_b32 v[60:61], v49 offset0:240 offset1:241
	ds_read2_b64 v[40:43], v40 offset0:110 offset1:236
	ds_read2_b64 v[44:47], v44 offset0:106 offset1:232
	;; [unrolled: 1-line block ×4, first 2 shown]
	s_waitcnt lgkmcnt(4)
	v_mov_b32_e32 v0, v61
	s_mov_b32 s4, 0x3f737871
	s_mov_b32 s6, 0x3f167918
	s_waitcnt lgkmcnt(0)
	s_barrier
	s_mov_b32 s2, 0x3e9e377a
	s_waitcnt vmcnt(5)
	v_pk_mul_f32 v[62:63], v[2:3], v[26:27] op_sel:[0,1]
	v_pk_mul_f32 v[64:65], v[4:5], v[38:39] op_sel:[0,1]
	s_waitcnt vmcnt(4)
	v_pk_mul_f32 v[66:67], v[6:7], v[40:41] op_sel:[0,1]
	v_pk_mul_f32 v[68:69], v[8:9], v[46:47] op_sel:[0,1]
	v_pk_fma_f32 v[70:71], v[2:3], v[26:27], v[62:63] op_sel:[0,0,1] op_sel_hi:[1,1,0]
	v_pk_fma_f32 v[2:3], v[2:3], v[26:27], v[62:63] op_sel:[0,0,1] op_sel_hi:[1,0,0] neg_lo:[1,0,0] neg_hi:[1,0,0]
	v_pk_fma_f32 v[26:27], v[4:5], v[38:39], v[64:65] op_sel:[0,0,1] op_sel_hi:[1,1,0]
	v_pk_fma_f32 v[4:5], v[4:5], v[38:39], v[64:65] op_sel:[0,0,1] op_sel_hi:[1,0,0] neg_lo:[1,0,0] neg_hi:[1,0,0]
	;; [unrolled: 2-line block ×4, first 2 shown]
	s_waitcnt vmcnt(3)
	v_pk_mul_f32 v[46:47], v[0:1], v[10:11] op_sel_hi:[0,1]
	v_mov_b32_e32 v0, v13
	s_waitcnt vmcnt(2)
	v_pk_mul_f32 v[62:63], v[42:43], v[14:15] op_sel:[0,1]
	v_mov_b32_e32 v2, v17
	v_mov_b32_e32 v71, v3
	;; [unrolled: 1-line block ×5, first 2 shown]
	v_pk_fma_f32 v[4:5], v[10:11], v[60:61], v[46:47] op_sel:[0,0,1] op_sel_hi:[1,1,0]
	v_pk_fma_f32 v[6:7], v[10:11], v[60:61], v[46:47] op_sel:[0,0,1] op_sel_hi:[1,0,0] neg_lo:[1,0,0] neg_hi:[1,0,0]
	v_pk_mul_f32 v[8:9], v[50:51], v[0:1] op_sel_hi:[1,0]
	v_pk_fma_f32 v[10:11], v[42:43], v[14:15], v[62:63] op_sel:[0,0,1] op_sel_hi:[1,1,0]
	v_pk_fma_f32 v[14:15], v[42:43], v[14:15], v[62:63] op_sel:[0,0,1] op_sel_hi:[1,0,0] neg_lo:[0,0,1] neg_hi:[0,0,1]
	v_pk_mul_f32 v[2:3], v[54:55], v[2:3] op_sel_hi:[1,0]
	s_waitcnt vmcnt(1)
	v_pk_mul_f32 v[42:43], v[36:37], v[18:19] op_sel:[0,1]
	v_mov_b32_e32 v0, v21
	v_pk_add_f32 v[60:61], v[32:33], v[70:71]
	s_waitcnt vmcnt(0)
	v_pk_mul_f32 v[46:47], v[44:45], v[22:23] op_sel:[0,1]
	v_pk_fma_f32 v[62:63], v[50:51], v[12:13], v[8:9] op_sel:[0,0,1] op_sel_hi:[1,1,0]
	v_pk_fma_f32 v[8:9], v[50:51], v[12:13], v[8:9] op_sel:[0,0,1] op_sel_hi:[1,0,0] neg_lo:[0,0,1] neg_hi:[0,0,1]
	v_mov_b32_e32 v11, v15
	v_pk_fma_f32 v[12:13], v[54:55], v[16:17], v[2:3] op_sel:[0,0,1] op_sel_hi:[1,1,0]
	v_pk_fma_f32 v[2:3], v[54:55], v[16:17], v[2:3] op_sel:[0,0,1] op_sel_hi:[1,0,0] neg_lo:[0,0,1] neg_hi:[0,0,1]
	v_pk_fma_f32 v[14:15], v[36:37], v[18:19], v[42:43] op_sel:[0,0,1] op_sel_hi:[1,1,0]
	v_pk_fma_f32 v[16:17], v[36:37], v[18:19], v[42:43] op_sel:[0,0,1] op_sel_hi:[1,0,0] neg_lo:[0,0,1] neg_hi:[0,0,1]
	v_pk_mul_f32 v[18:19], v[52:53], v[0:1] op_sel_hi:[1,0]
	v_pk_add_f32 v[42:43], v[60:61], v[26:27]
	v_mov_b32_e32 v6, v25
	v_pk_fma_f32 v[36:37], v[44:45], v[22:23], v[46:47] op_sel:[0,0,1] op_sel_hi:[1,1,0]
	v_pk_fma_f32 v[22:23], v[44:45], v[22:23], v[46:47] op_sel:[0,0,1] op_sel_hi:[1,0,0] neg_lo:[0,0,1] neg_hi:[0,0,1]
	v_mov_b32_e32 v63, v9
	v_mov_b32_e32 v15, v17
	v_pk_fma_f32 v[8:9], v[52:53], v[20:21], v[18:19] op_sel:[0,0,1] op_sel_hi:[1,1,0]
	v_pk_fma_f32 v[16:17], v[52:53], v[20:21], v[18:19] op_sel:[0,0,1] op_sel_hi:[1,0,0] neg_lo:[0,0,1] neg_hi:[0,0,1]
	v_pk_add_f32 v[20:21], v[42:43], v[38:39]
	v_mov_b32_e32 v5, v7
	v_pk_mul_f32 v[6:7], v[56:57], v[6:7] op_sel_hi:[1,0]
	v_mov_b32_e32 v37, v23
	v_mov_b32_e32 v9, v17
	v_pk_add_f32 v[16:17], v[20:21], v[40:41]
	v_pk_add_f32 v[20:21], v[26:27], v[38:39]
	v_pk_add_f32 v[22:23], v[70:71], v[40:41] neg_lo:[0,1] neg_hi:[0,1]
	v_pk_fma_f32 v[18:19], v[56:57], v[24:25], v[6:7] op_sel:[0,0,1] op_sel_hi:[1,1,0]
	v_pk_fma_f32 v[6:7], v[56:57], v[24:25], v[6:7] op_sel:[0,0,1] op_sel_hi:[1,0,0] neg_lo:[0,0,1] neg_hi:[0,0,1]
	v_pk_fma_f32 v[20:21], v[20:21], 0.5, v[32:33] op_sel_hi:[1,0,1] neg_lo:[1,0,0] neg_hi:[1,0,0]
	v_pk_mul_f32 v[24:25], v[22:23], s[4:5] op_sel_hi:[1,0]
	v_pk_add_f32 v[42:43], v[26:27], v[38:39] neg_lo:[0,1] neg_hi:[0,1]
	v_pk_add_f32 v[46:47], v[70:71], v[26:27] neg_lo:[0,1] neg_hi:[0,1]
	;; [unrolled: 1-line block ×3, first 2 shown]
	v_pk_mul_f32 v[44:45], v[42:43], s[6:7] op_sel_hi:[1,0]
	v_pk_add_f32 v[46:47], v[46:47], v[50:51]
	v_pk_add_f32 v[50:51], v[20:21], v[24:25] op_sel:[0,1] op_sel_hi:[1,0] neg_lo:[0,1] neg_hi:[0,1]
	v_mov_b32_e32 v13, v3
	v_pk_add_f32 v[2:3], v[34:35], v[4:5]
	v_pk_add_f32 v[20:21], v[20:21], v[24:25] op_sel:[0,1] op_sel_hi:[1,0]
	v_pk_add_f32 v[24:25], v[50:51], v[44:45] op_sel:[0,1] op_sel_hi:[1,0] neg_lo:[0,1] neg_hi:[0,1]
	v_pk_add_f32 v[50:51], v[70:71], v[40:41]
	v_pk_add_f32 v[26:27], v[26:27], v[70:71] neg_lo:[0,1] neg_hi:[0,1]
	v_pk_add_f32 v[38:39], v[38:39], v[40:41] neg_lo:[0,1] neg_hi:[0,1]
	v_pk_add_f32 v[2:3], v[2:3], v[62:63]
	v_pk_fma_f32 v[32:33], v[50:51], 0.5, v[32:33] op_sel_hi:[1,0,1] neg_lo:[1,0,0] neg_hi:[1,0,0]
	v_pk_add_f32 v[26:27], v[26:27], v[38:39]
	v_pk_mul_f32 v[38:39], v[42:43], s[4:5] op_sel_hi:[1,0]
	v_pk_add_f32 v[2:3], v[2:3], v[10:11]
	v_pk_mul_f32 v[22:23], v[22:23], s[6:7] op_sel_hi:[1,0]
	v_pk_add_f32 v[40:41], v[32:33], v[38:39] op_sel:[0,1] op_sel_hi:[1,0]
	v_pk_add_f32 v[32:33], v[32:33], v[38:39] op_sel:[0,1] op_sel_hi:[1,0] neg_lo:[0,1] neg_hi:[0,1]
	v_pk_add_f32 v[2:3], v[2:3], v[12:13]
	v_pk_add_f32 v[32:33], v[32:33], v[22:23] op_sel:[0,1] op_sel_hi:[1,0]
	v_pk_add_f32 v[22:23], v[40:41], v[22:23] op_sel:[0,1] op_sel_hi:[1,0] neg_lo:[0,1] neg_hi:[0,1]
	v_pk_add_f32 v[20:21], v[20:21], v[44:45] op_sel:[0,1] op_sel_hi:[1,0]
	v_mov_b32_e32 v38, v22
	v_mov_b32_e32 v39, v33
	;; [unrolled: 1-line block ×3, first 2 shown]
	ds_write2_b64 v48, v[16:17], v[2:3] offset1:126
	v_pk_add_f32 v[2:3], v[62:63], v[10:11]
	v_pk_add_f32 v[16:17], v[4:5], v[12:13] neg_lo:[0,1] neg_hi:[0,1]
	v_mov_b32_e32 v44, v24
	v_mov_b32_e32 v45, v21
	v_pk_fma_f32 v[38:39], v[26:27], s[2:3], v[38:39] op_sel_hi:[1,0,1]
	v_pk_fma_f32 v[22:23], v[26:27], s[2:3], v[32:33] op_sel_hi:[1,0,1]
	v_mov_b32_e32 v21, v25
	v_pk_fma_f32 v[2:3], v[2:3], 0.5, v[34:35] op_sel_hi:[1,0,1] neg_lo:[1,0,0] neg_hi:[1,0,0]
	v_pk_mul_f32 v[24:25], v[16:17], s[4:5] op_sel_hi:[1,0]
	v_pk_add_f32 v[26:27], v[62:63], v[10:11] neg_lo:[0,1] neg_hi:[0,1]
	v_pk_add_f32 v[40:41], v[4:5], v[62:63] neg_lo:[0,1] neg_hi:[0,1]
	;; [unrolled: 1-line block ×3, first 2 shown]
	v_pk_mul_f32 v[32:33], v[26:27], s[6:7] op_sel_hi:[1,0]
	v_pk_add_f32 v[40:41], v[40:41], v[42:43]
	v_pk_add_f32 v[42:43], v[2:3], v[24:25] op_sel:[0,1] op_sel_hi:[1,0] neg_lo:[0,1] neg_hi:[0,1]
	v_pk_add_f32 v[2:3], v[2:3], v[24:25] op_sel:[0,1] op_sel_hi:[1,0]
	v_pk_add_f32 v[24:25], v[42:43], v[32:33] op_sel:[0,1] op_sel_hi:[1,0] neg_lo:[0,1] neg_hi:[0,1]
	v_pk_add_f32 v[42:43], v[4:5], v[12:13]
	v_pk_add_f32 v[4:5], v[62:63], v[4:5] neg_lo:[0,1] neg_hi:[0,1]
	v_pk_add_f32 v[10:11], v[10:11], v[12:13] neg_lo:[0,1] neg_hi:[0,1]
	v_pk_fma_f32 v[34:35], v[42:43], 0.5, v[34:35] op_sel_hi:[1,0,1] neg_lo:[1,0,0] neg_hi:[1,0,0]
	v_pk_add_f32 v[4:5], v[4:5], v[10:11]
	v_pk_mul_f32 v[10:11], v[26:27], s[4:5] op_sel_hi:[1,0]
	v_pk_mul_f32 v[12:13], v[16:17], s[6:7] op_sel_hi:[1,0]
	v_pk_add_f32 v[16:17], v[34:35], v[10:11] op_sel:[0,1] op_sel_hi:[1,0]
	v_pk_add_f32 v[10:11], v[34:35], v[10:11] op_sel:[0,1] op_sel_hi:[1,0] neg_lo:[0,1] neg_hi:[0,1]
	v_mov_b32_e32 v19, v7
	v_pk_add_f32 v[10:11], v[10:11], v[12:13] op_sel:[0,1] op_sel_hi:[1,0]
	v_pk_add_f32 v[12:13], v[16:17], v[12:13] op_sel:[0,1] op_sel_hi:[1,0] neg_lo:[0,1] neg_hi:[0,1]
	v_pk_add_f32 v[6:7], v[58:59], v[14:15]
	v_pk_add_f32 v[2:3], v[2:3], v[32:33] op_sel:[0,1] op_sel_hi:[1,0]
	v_mov_b32_e32 v16, v12
	v_mov_b32_e32 v17, v11
	v_pk_add_f32 v[6:7], v[6:7], v[8:9]
	v_mov_b32_e32 v33, v3
	v_pk_fma_f32 v[16:17], v[4:5], s[2:3], v[16:17] op_sel_hi:[1,0,1]
	v_add_u32_e32 v0, 0x1400, v48
	v_mov_b32_e32 v3, v25
	v_pk_add_f32 v[6:7], v[6:7], v[36:37]
	v_pk_fma_f32 v[20:21], v[46:47], s[2:3], v[20:21] op_sel_hi:[1,0,1]
	ds_write2_b64 v0, v[38:39], v[16:17] offset0:116 offset1:242
	v_pk_fma_f32 v[2:3], v[40:41], s[2:3], v[2:3] op_sel_hi:[1,0,1]
	v_add_u32_e32 v0, 0x2c00, v48
	v_pk_add_f32 v[6:7], v[6:7], v[18:19]
	v_pk_fma_f32 v[44:45], v[46:47], s[2:3], v[44:45] op_sel_hi:[1,0,1]
	ds_write2_b64 v0, v[20:21], v[2:3] offset0:104 offset1:230
	v_add_u32_e32 v0, 0x400, v48
	v_mov_b32_e32 v11, v13
	ds_write2_b64 v0, v[6:7], v[44:45] offset0:124 offset1:250
	v_pk_add_f32 v[2:3], v[8:9], v[36:37]
	v_pk_add_f32 v[6:7], v[14:15], v[18:19] neg_lo:[0,1] neg_hi:[0,1]
	v_mov_b32_e32 v32, v24
	v_pk_fma_f32 v[4:5], v[4:5], s[2:3], v[10:11] op_sel_hi:[1,0,1]
	v_pk_fma_f32 v[2:3], v[2:3], 0.5, v[58:59] op_sel_hi:[1,0,1] neg_lo:[1,0,0] neg_hi:[1,0,0]
	v_pk_mul_f32 v[10:11], v[6:7], s[4:5] op_sel_hi:[1,0]
	v_pk_add_f32 v[12:13], v[8:9], v[36:37] neg_lo:[0,1] neg_hi:[0,1]
	v_pk_add_f32 v[20:21], v[14:15], v[8:9] neg_lo:[0,1] neg_hi:[0,1]
	;; [unrolled: 1-line block ×3, first 2 shown]
	v_pk_mul_f32 v[16:17], v[12:13], s[6:7] op_sel_hi:[1,0]
	v_pk_add_f32 v[20:21], v[20:21], v[24:25]
	v_pk_add_f32 v[24:25], v[2:3], v[10:11] op_sel:[0,1] op_sel_hi:[1,0] neg_lo:[0,1] neg_hi:[0,1]
	v_pk_add_f32 v[2:3], v[2:3], v[10:11] op_sel:[0,1] op_sel_hi:[1,0]
	v_pk_add_f32 v[10:11], v[24:25], v[16:17] op_sel:[0,1] op_sel_hi:[1,0] neg_lo:[0,1] neg_hi:[0,1]
	v_pk_add_f32 v[2:3], v[2:3], v[16:17] op_sel:[0,1] op_sel_hi:[1,0]
	v_mov_b32_e32 v16, v10
	v_mov_b32_e32 v17, v3
	v_pk_fma_f32 v[32:33], v[40:41], s[2:3], v[32:33] op_sel_hi:[1,0,1]
	v_pk_fma_f32 v[16:17], v[20:21], s[2:3], v[16:17] op_sel_hi:[1,0,1]
	ds_write2_b64 v49, v[32:33], v[16:17] offset0:120 offset1:246
	v_pk_add_f32 v[16:17], v[14:15], v[18:19]
	v_pk_add_f32 v[8:9], v[8:9], v[14:15] neg_lo:[0,1] neg_hi:[0,1]
	v_pk_fma_f32 v[16:17], v[16:17], 0.5, v[58:59] op_sel_hi:[1,0,1] neg_lo:[1,0,0] neg_hi:[1,0,0]
	v_pk_add_f32 v[14:15], v[36:37], v[18:19] neg_lo:[0,1] neg_hi:[0,1]
	v_pk_mul_f32 v[12:13], v[12:13], s[4:5] op_sel_hi:[1,0]
	v_pk_add_f32 v[8:9], v[8:9], v[14:15]
	v_pk_mul_f32 v[6:7], v[6:7], s[6:7] op_sel_hi:[1,0]
	v_pk_add_f32 v[14:15], v[16:17], v[12:13] op_sel:[0,1] op_sel_hi:[1,0]
	v_pk_add_f32 v[12:13], v[16:17], v[12:13] op_sel:[0,1] op_sel_hi:[1,0] neg_lo:[0,1] neg_hi:[0,1]
	v_add_u32_e32 v0, 0x1c00, v48
	v_pk_add_f32 v[12:13], v[12:13], v[6:7] op_sel:[0,1] op_sel_hi:[1,0]
	v_pk_add_f32 v[6:7], v[14:15], v[6:7] op_sel:[0,1] op_sel_hi:[1,0] neg_lo:[0,1] neg_hi:[0,1]
	v_mov_b32_e32 v15, v13
	v_mov_b32_e32 v14, v6
	v_pk_fma_f32 v[14:15], v[8:9], s[2:3], v[14:15] op_sel_hi:[1,0,1]
	v_mov_b32_e32 v13, v7
	v_mov_b32_e32 v3, v11
	ds_write2_b64 v0, v[14:15], v[22:23] offset0:112 offset1:238
	v_pk_fma_f32 v[6:7], v[8:9], s[2:3], v[12:13] op_sel_hi:[1,0,1]
	v_add_u32_e32 v0, 0x2400, v48
	v_pk_fma_f32 v[2:3], v[20:21], s[2:3], v[2:3] op_sel_hi:[1,0,1]
	ds_write2_b64 v0, v[4:5], v[6:7] offset0:108 offset1:234
	ds_write_b64 v48, v[2:3] offset:14112
	s_waitcnt lgkmcnt(0)
	s_barrier
	s_and_saveexec_b64 s[2:3], s[0:1]
	s_cbranch_execz .LBB0_27
; %bb.26:
	v_lshl_add_u32 v10, v30, 3, 0
	ds_read2_b64 v[2:5], v10 offset1:126
	v_mov_b32_e32 v31, v1
	v_lshl_add_u64 v[6:7], v[30:31], 3, v[28:29]
	v_add_u32_e32 v8, 0x400, v10
	v_add_u32_e32 v0, 0x7e, v30
	s_waitcnt lgkmcnt(0)
	global_store_dwordx2 v[6:7], v[2:3], off
	ds_read2_b64 v[6:9], v8 offset0:124 offset1:250
	v_lshl_add_u64 v[2:3], v[0:1], 3, v[28:29]
	v_add_u32_e32 v0, 0xfc, v30
	global_store_dwordx2 v[2:3], v[4:5], off
	v_lshl_add_u64 v[2:3], v[0:1], 3, v[28:29]
	s_waitcnt lgkmcnt(0)
	global_store_dwordx2 v[2:3], v[6:7], off
	v_add_u32_e32 v2, 0xc00, v10
	ds_read2_b64 v[2:5], v2 offset0:120 offset1:246
	v_add_u32_e32 v0, 0x17a, v30
	v_lshl_add_u64 v[6:7], v[0:1], 3, v[28:29]
	v_add_u32_e32 v0, 0x1f8, v30
	global_store_dwordx2 v[6:7], v[8:9], off
	v_lshl_add_u64 v[6:7], v[0:1], 3, v[28:29]
	s_waitcnt lgkmcnt(0)
	global_store_dwordx2 v[6:7], v[2:3], off
	v_add_u32_e32 v2, 0x1400, v10
	ds_read2_b64 v[6:9], v2 offset0:116 offset1:242
	v_add_u32_e32 v0, 0x276, v30
	;; [unrolled: 9-line block ×5, first 2 shown]
	v_lshl_add_u64 v[6:7], v[0:1], 3, v[28:29]
	v_add_u32_e32 v0, 0x5e8, v30
	global_store_dwordx2 v[6:7], v[8:9], off
	v_lshl_add_u64 v[6:7], v[0:1], 3, v[28:29]
	s_waitcnt lgkmcnt(0)
	global_store_dwordx2 v[6:7], v[2:3], off
	ds_read_b64 v[2:3], v10 offset:14112
	v_add_u32_e32 v0, 0x666, v30
	v_lshl_add_u64 v[6:7], v[0:1], 3, v[28:29]
	v_add_u32_e32 v0, 0x6e4, v30
	v_lshl_add_u64 v[0:1], v[0:1], 3, v[28:29]
	global_store_dwordx2 v[6:7], v[4:5], off
	s_waitcnt lgkmcnt(0)
	global_store_dwordx2 v[0:1], v[2:3], off
.LBB0_27:
	s_endpgm
	.section	.rodata,"a",@progbits
	.p2align	6, 0x0
	.amdhsa_kernel fft_rtc_back_len1890_factors_2_3_3_3_7_5_wgs_126_tpt_126_halfLds_sp_ip_CI_unitstride_sbrr_C2R_dirReg
		.amdhsa_group_segment_fixed_size 0
		.amdhsa_private_segment_fixed_size 0
		.amdhsa_kernarg_size 88
		.amdhsa_user_sgpr_count 2
		.amdhsa_user_sgpr_dispatch_ptr 0
		.amdhsa_user_sgpr_queue_ptr 0
		.amdhsa_user_sgpr_kernarg_segment_ptr 1
		.amdhsa_user_sgpr_dispatch_id 0
		.amdhsa_user_sgpr_kernarg_preload_length 0
		.amdhsa_user_sgpr_kernarg_preload_offset 0
		.amdhsa_user_sgpr_private_segment_size 0
		.amdhsa_uses_dynamic_stack 0
		.amdhsa_enable_private_segment 0
		.amdhsa_system_sgpr_workgroup_id_x 1
		.amdhsa_system_sgpr_workgroup_id_y 0
		.amdhsa_system_sgpr_workgroup_id_z 0
		.amdhsa_system_sgpr_workgroup_info 0
		.amdhsa_system_vgpr_workitem_id 0
		.amdhsa_next_free_vgpr 94
		.amdhsa_next_free_sgpr 22
		.amdhsa_accum_offset 96
		.amdhsa_reserve_vcc 1
		.amdhsa_float_round_mode_32 0
		.amdhsa_float_round_mode_16_64 0
		.amdhsa_float_denorm_mode_32 3
		.amdhsa_float_denorm_mode_16_64 3
		.amdhsa_dx10_clamp 1
		.amdhsa_ieee_mode 1
		.amdhsa_fp16_overflow 0
		.amdhsa_tg_split 0
		.amdhsa_exception_fp_ieee_invalid_op 0
		.amdhsa_exception_fp_denorm_src 0
		.amdhsa_exception_fp_ieee_div_zero 0
		.amdhsa_exception_fp_ieee_overflow 0
		.amdhsa_exception_fp_ieee_underflow 0
		.amdhsa_exception_fp_ieee_inexact 0
		.amdhsa_exception_int_div_zero 0
	.end_amdhsa_kernel
	.text
.Lfunc_end0:
	.size	fft_rtc_back_len1890_factors_2_3_3_3_7_5_wgs_126_tpt_126_halfLds_sp_ip_CI_unitstride_sbrr_C2R_dirReg, .Lfunc_end0-fft_rtc_back_len1890_factors_2_3_3_3_7_5_wgs_126_tpt_126_halfLds_sp_ip_CI_unitstride_sbrr_C2R_dirReg
                                        ; -- End function
	.section	.AMDGPU.csdata,"",@progbits
; Kernel info:
; codeLenInByte = 11760
; NumSgprs: 28
; NumVgprs: 94
; NumAgprs: 0
; TotalNumVgprs: 94
; ScratchSize: 0
; MemoryBound: 0
; FloatMode: 240
; IeeeMode: 1
; LDSByteSize: 0 bytes/workgroup (compile time only)
; SGPRBlocks: 3
; VGPRBlocks: 11
; NumSGPRsForWavesPerEU: 28
; NumVGPRsForWavesPerEU: 94
; AccumOffset: 96
; Occupancy: 5
; WaveLimiterHint : 1
; COMPUTE_PGM_RSRC2:SCRATCH_EN: 0
; COMPUTE_PGM_RSRC2:USER_SGPR: 2
; COMPUTE_PGM_RSRC2:TRAP_HANDLER: 0
; COMPUTE_PGM_RSRC2:TGID_X_EN: 1
; COMPUTE_PGM_RSRC2:TGID_Y_EN: 0
; COMPUTE_PGM_RSRC2:TGID_Z_EN: 0
; COMPUTE_PGM_RSRC2:TIDIG_COMP_CNT: 0
; COMPUTE_PGM_RSRC3_GFX90A:ACCUM_OFFSET: 23
; COMPUTE_PGM_RSRC3_GFX90A:TG_SPLIT: 0
	.text
	.p2alignl 6, 3212836864
	.fill 256, 4, 3212836864
	.type	__hip_cuid_83fa4ea05a99d86b,@object ; @__hip_cuid_83fa4ea05a99d86b
	.section	.bss,"aw",@nobits
	.globl	__hip_cuid_83fa4ea05a99d86b
__hip_cuid_83fa4ea05a99d86b:
	.byte	0                               ; 0x0
	.size	__hip_cuid_83fa4ea05a99d86b, 1

	.ident	"AMD clang version 19.0.0git (https://github.com/RadeonOpenCompute/llvm-project roc-6.4.0 25133 c7fe45cf4b819c5991fe208aaa96edf142730f1d)"
	.section	".note.GNU-stack","",@progbits
	.addrsig
	.addrsig_sym __hip_cuid_83fa4ea05a99d86b
	.amdgpu_metadata
---
amdhsa.kernels:
  - .agpr_count:     0
    .args:
      - .actual_access:  read_only
        .address_space:  global
        .offset:         0
        .size:           8
        .value_kind:     global_buffer
      - .offset:         8
        .size:           8
        .value_kind:     by_value
      - .actual_access:  read_only
        .address_space:  global
        .offset:         16
        .size:           8
        .value_kind:     global_buffer
      - .actual_access:  read_only
        .address_space:  global
        .offset:         24
        .size:           8
        .value_kind:     global_buffer
      - .offset:         32
        .size:           8
        .value_kind:     by_value
      - .actual_access:  read_only
        .address_space:  global
        .offset:         40
        .size:           8
        .value_kind:     global_buffer
      - .actual_access:  read_only
        .address_space:  global
        .offset:         48
        .size:           8
        .value_kind:     global_buffer
      - .offset:         56
        .size:           4
        .value_kind:     by_value
      - .actual_access:  read_only
        .address_space:  global
        .offset:         64
        .size:           8
        .value_kind:     global_buffer
      - .actual_access:  read_only
        .address_space:  global
        .offset:         72
        .size:           8
        .value_kind:     global_buffer
      - .address_space:  global
        .offset:         80
        .size:           8
        .value_kind:     global_buffer
    .group_segment_fixed_size: 0
    .kernarg_segment_align: 8
    .kernarg_segment_size: 88
    .language:       OpenCL C
    .language_version:
      - 2
      - 0
    .max_flat_workgroup_size: 126
    .name:           fft_rtc_back_len1890_factors_2_3_3_3_7_5_wgs_126_tpt_126_halfLds_sp_ip_CI_unitstride_sbrr_C2R_dirReg
    .private_segment_fixed_size: 0
    .sgpr_count:     28
    .sgpr_spill_count: 0
    .symbol:         fft_rtc_back_len1890_factors_2_3_3_3_7_5_wgs_126_tpt_126_halfLds_sp_ip_CI_unitstride_sbrr_C2R_dirReg.kd
    .uniform_work_group_size: 1
    .uses_dynamic_stack: false
    .vgpr_count:     94
    .vgpr_spill_count: 0
    .wavefront_size: 64
amdhsa.target:   amdgcn-amd-amdhsa--gfx950
amdhsa.version:
  - 1
  - 2
...

	.end_amdgpu_metadata
